;; amdgpu-corpus repo=ROCm/rocFFT kind=compiled arch=gfx1030 opt=O3
	.text
	.amdgcn_target "amdgcn-amd-amdhsa--gfx1030"
	.amdhsa_code_object_version 6
	.protected	fft_rtc_back_len325_factors_13_5_5_wgs_52_tpt_13_dp_ip_CI_unitstride_sbrr_dirReg ; -- Begin function fft_rtc_back_len325_factors_13_5_5_wgs_52_tpt_13_dp_ip_CI_unitstride_sbrr_dirReg
	.globl	fft_rtc_back_len325_factors_13_5_5_wgs_52_tpt_13_dp_ip_CI_unitstride_sbrr_dirReg
	.p2align	8
	.type	fft_rtc_back_len325_factors_13_5_5_wgs_52_tpt_13_dp_ip_CI_unitstride_sbrr_dirReg,@function
fft_rtc_back_len325_factors_13_5_5_wgs_52_tpt_13_dp_ip_CI_unitstride_sbrr_dirReg: ; @fft_rtc_back_len325_factors_13_5_5_wgs_52_tpt_13_dp_ip_CI_unitstride_sbrr_dirReg
; %bb.0:
	s_clause 0x2
	s_load_dwordx4 s[8:11], s[4:5], 0x0
	s_load_dwordx2 s[2:3], s[4:5], 0x50
	s_load_dwordx2 s[12:13], s[4:5], 0x18
	v_mul_u32_u24_e32 v1, 0x13b2, v0
	v_mov_b32_e32 v3, 0
	v_lshrrev_b32_e32 v9, 16, v1
	v_mov_b32_e32 v1, 0
	v_mov_b32_e32 v6, v3
	v_mov_b32_e32 v2, 0
	v_lshl_add_u32 v5, s6, 2, v9
	s_waitcnt lgkmcnt(0)
	v_cmp_lt_u64_e64 s0, s[10:11], 2
	s_and_b32 vcc_lo, exec_lo, s0
	s_cbranch_vccnz .LBB0_8
; %bb.1:
	s_load_dwordx2 s[0:1], s[4:5], 0x10
	v_mov_b32_e32 v1, 0
	s_add_u32 s6, s12, 8
	v_mov_b32_e32 v2, 0
	s_addc_u32 s7, s13, 0
	s_mov_b64 s[16:17], 1
	s_waitcnt lgkmcnt(0)
	s_add_u32 s14, s0, 8
	s_addc_u32 s15, s1, 0
.LBB0_2:                                ; =>This Inner Loop Header: Depth=1
	s_load_dwordx2 s[18:19], s[14:15], 0x0
                                        ; implicit-def: $vgpr7_vgpr8
	s_mov_b32 s0, exec_lo
	s_waitcnt lgkmcnt(0)
	v_or_b32_e32 v4, s19, v6
	v_cmpx_ne_u64_e32 0, v[3:4]
	s_xor_b32 s1, exec_lo, s0
	s_cbranch_execz .LBB0_4
; %bb.3:                                ;   in Loop: Header=BB0_2 Depth=1
	v_cvt_f32_u32_e32 v4, s18
	v_cvt_f32_u32_e32 v7, s19
	s_sub_u32 s0, 0, s18
	s_subb_u32 s20, 0, s19
	v_fmac_f32_e32 v4, 0x4f800000, v7
	v_rcp_f32_e32 v4, v4
	v_mul_f32_e32 v4, 0x5f7ffffc, v4
	v_mul_f32_e32 v7, 0x2f800000, v4
	v_trunc_f32_e32 v7, v7
	v_fmac_f32_e32 v4, 0xcf800000, v7
	v_cvt_u32_f32_e32 v7, v7
	v_cvt_u32_f32_e32 v4, v4
	v_mul_lo_u32 v8, s0, v7
	v_mul_hi_u32 v10, s0, v4
	v_mul_lo_u32 v11, s20, v4
	v_add_nc_u32_e32 v8, v10, v8
	v_mul_lo_u32 v10, s0, v4
	v_add_nc_u32_e32 v8, v8, v11
	v_mul_hi_u32 v11, v4, v10
	v_mul_lo_u32 v12, v4, v8
	v_mul_hi_u32 v13, v4, v8
	v_mul_hi_u32 v14, v7, v10
	v_mul_lo_u32 v10, v7, v10
	v_mul_hi_u32 v15, v7, v8
	v_mul_lo_u32 v8, v7, v8
	v_add_co_u32 v11, vcc_lo, v11, v12
	v_add_co_ci_u32_e32 v12, vcc_lo, 0, v13, vcc_lo
	v_add_co_u32 v10, vcc_lo, v11, v10
	v_add_co_ci_u32_e32 v10, vcc_lo, v12, v14, vcc_lo
	v_add_co_ci_u32_e32 v11, vcc_lo, 0, v15, vcc_lo
	v_add_co_u32 v8, vcc_lo, v10, v8
	v_add_co_ci_u32_e32 v10, vcc_lo, 0, v11, vcc_lo
	v_add_co_u32 v4, vcc_lo, v4, v8
	v_add_co_ci_u32_e32 v7, vcc_lo, v7, v10, vcc_lo
	v_mul_hi_u32 v8, s0, v4
	v_mul_lo_u32 v11, s20, v4
	v_mul_lo_u32 v10, s0, v7
	v_add_nc_u32_e32 v8, v8, v10
	v_mul_lo_u32 v10, s0, v4
	v_add_nc_u32_e32 v8, v8, v11
	v_mul_hi_u32 v11, v4, v10
	v_mul_lo_u32 v12, v4, v8
	v_mul_hi_u32 v13, v4, v8
	v_mul_hi_u32 v14, v7, v10
	v_mul_lo_u32 v10, v7, v10
	v_mul_hi_u32 v15, v7, v8
	v_mul_lo_u32 v8, v7, v8
	v_add_co_u32 v11, vcc_lo, v11, v12
	v_add_co_ci_u32_e32 v12, vcc_lo, 0, v13, vcc_lo
	v_add_co_u32 v10, vcc_lo, v11, v10
	v_add_co_ci_u32_e32 v10, vcc_lo, v12, v14, vcc_lo
	v_add_co_ci_u32_e32 v11, vcc_lo, 0, v15, vcc_lo
	v_add_co_u32 v8, vcc_lo, v10, v8
	v_add_co_ci_u32_e32 v10, vcc_lo, 0, v11, vcc_lo
	v_add_co_u32 v4, vcc_lo, v4, v8
	v_add_co_ci_u32_e32 v12, vcc_lo, v7, v10, vcc_lo
	v_mul_hi_u32 v14, v5, v4
	v_mad_u64_u32 v[10:11], null, v6, v4, 0
	v_mad_u64_u32 v[7:8], null, v5, v12, 0
	;; [unrolled: 1-line block ×3, first 2 shown]
	v_add_co_u32 v4, vcc_lo, v14, v7
	v_add_co_ci_u32_e32 v7, vcc_lo, 0, v8, vcc_lo
	v_add_co_u32 v4, vcc_lo, v4, v10
	v_add_co_ci_u32_e32 v4, vcc_lo, v7, v11, vcc_lo
	v_add_co_ci_u32_e32 v7, vcc_lo, 0, v13, vcc_lo
	v_add_co_u32 v4, vcc_lo, v4, v12
	v_add_co_ci_u32_e32 v10, vcc_lo, 0, v7, vcc_lo
	v_mul_lo_u32 v11, s19, v4
	v_mad_u64_u32 v[7:8], null, s18, v4, 0
	v_mul_lo_u32 v12, s18, v10
	v_sub_co_u32 v7, vcc_lo, v5, v7
	v_add3_u32 v8, v8, v12, v11
	v_sub_nc_u32_e32 v11, v6, v8
	v_subrev_co_ci_u32_e64 v11, s0, s19, v11, vcc_lo
	v_add_co_u32 v12, s0, v4, 2
	v_add_co_ci_u32_e64 v13, s0, 0, v10, s0
	v_sub_co_u32 v14, s0, v7, s18
	v_sub_co_ci_u32_e32 v8, vcc_lo, v6, v8, vcc_lo
	v_subrev_co_ci_u32_e64 v11, s0, 0, v11, s0
	v_cmp_le_u32_e32 vcc_lo, s18, v14
	v_cmp_eq_u32_e64 s0, s19, v8
	v_cndmask_b32_e64 v14, 0, -1, vcc_lo
	v_cmp_le_u32_e32 vcc_lo, s19, v11
	v_cndmask_b32_e64 v15, 0, -1, vcc_lo
	v_cmp_le_u32_e32 vcc_lo, s18, v7
	;; [unrolled: 2-line block ×3, first 2 shown]
	v_cndmask_b32_e64 v16, 0, -1, vcc_lo
	v_cmp_eq_u32_e32 vcc_lo, s19, v11
	v_cndmask_b32_e64 v7, v16, v7, s0
	v_cndmask_b32_e32 v11, v15, v14, vcc_lo
	v_add_co_u32 v14, vcc_lo, v4, 1
	v_add_co_ci_u32_e32 v15, vcc_lo, 0, v10, vcc_lo
	v_cmp_ne_u32_e32 vcc_lo, 0, v11
	v_cndmask_b32_e32 v8, v15, v13, vcc_lo
	v_cndmask_b32_e32 v11, v14, v12, vcc_lo
	v_cmp_ne_u32_e32 vcc_lo, 0, v7
	v_cndmask_b32_e32 v8, v10, v8, vcc_lo
	v_cndmask_b32_e32 v7, v4, v11, vcc_lo
.LBB0_4:                                ;   in Loop: Header=BB0_2 Depth=1
	s_andn2_saveexec_b32 s0, s1
	s_cbranch_execz .LBB0_6
; %bb.5:                                ;   in Loop: Header=BB0_2 Depth=1
	v_cvt_f32_u32_e32 v4, s18
	s_sub_i32 s1, 0, s18
	v_rcp_iflag_f32_e32 v4, v4
	v_mul_f32_e32 v4, 0x4f7ffffe, v4
	v_cvt_u32_f32_e32 v4, v4
	v_mul_lo_u32 v7, s1, v4
	v_mul_hi_u32 v7, v4, v7
	v_add_nc_u32_e32 v4, v4, v7
	v_mul_hi_u32 v4, v5, v4
	v_mul_lo_u32 v7, v4, s18
	v_add_nc_u32_e32 v8, 1, v4
	v_sub_nc_u32_e32 v7, v5, v7
	v_subrev_nc_u32_e32 v10, s18, v7
	v_cmp_le_u32_e32 vcc_lo, s18, v7
	v_cndmask_b32_e32 v7, v7, v10, vcc_lo
	v_cndmask_b32_e32 v4, v4, v8, vcc_lo
	v_cmp_le_u32_e32 vcc_lo, s18, v7
	v_add_nc_u32_e32 v8, 1, v4
	v_cndmask_b32_e32 v7, v4, v8, vcc_lo
	v_mov_b32_e32 v8, v3
.LBB0_6:                                ;   in Loop: Header=BB0_2 Depth=1
	s_or_b32 exec_lo, exec_lo, s0
	s_load_dwordx2 s[0:1], s[6:7], 0x0
	v_mul_lo_u32 v4, v8, s18
	v_mul_lo_u32 v12, v7, s19
	v_mad_u64_u32 v[10:11], null, v7, s18, 0
	s_add_u32 s16, s16, 1
	s_addc_u32 s17, s17, 0
	s_add_u32 s6, s6, 8
	s_addc_u32 s7, s7, 0
	;; [unrolled: 2-line block ×3, first 2 shown]
	v_add3_u32 v4, v11, v12, v4
	v_sub_co_u32 v5, vcc_lo, v5, v10
	v_sub_co_ci_u32_e32 v4, vcc_lo, v6, v4, vcc_lo
	s_waitcnt lgkmcnt(0)
	v_mul_lo_u32 v6, s1, v5
	v_mul_lo_u32 v4, s0, v4
	v_mad_u64_u32 v[1:2], null, s0, v5, v[1:2]
	v_cmp_ge_u64_e64 s0, s[16:17], s[10:11]
	s_and_b32 vcc_lo, exec_lo, s0
	v_add3_u32 v2, v6, v2, v4
	s_cbranch_vccnz .LBB0_9
; %bb.7:                                ;   in Loop: Header=BB0_2 Depth=1
	v_mov_b32_e32 v5, v7
	v_mov_b32_e32 v6, v8
	s_branch .LBB0_2
.LBB0_8:
	v_mov_b32_e32 v8, v6
	v_mov_b32_e32 v7, v5
.LBB0_9:
	s_lshl_b64 s[0:1], s[10:11], 3
	v_mul_hi_u32 v3, 0x13b13b14, v0
	s_add_u32 s0, s12, s0
	s_addc_u32 s1, s13, s1
	s_load_dwordx2 s[0:1], s[0:1], 0x0
	s_load_dwordx2 s[4:5], s[4:5], 0x20
	v_mul_u32_u24_e32 v3, 13, v3
	v_sub_nc_u32_e32 v182, v0, v3
	v_and_b32_e32 v0, 3, v9
	v_add_nc_u32_e32 v166, 13, v182
	s_waitcnt lgkmcnt(0)
	v_mul_lo_u32 v4, s0, v8
	v_mul_lo_u32 v5, s1, v7
	v_mad_u64_u32 v[1:2], null, s0, v7, v[1:2]
	v_cmp_gt_u64_e32 vcc_lo, s[4:5], v[7:8]
	v_cmp_le_u64_e64 s0, s[4:5], v[7:8]
	v_add3_u32 v2, v5, v2, v4
	s_and_saveexec_b32 s1, s0
	s_xor_b32 s0, exec_lo, s1
; %bb.10:
	v_add_nc_u32_e32 v166, 13, v182
; %bb.11:
	s_or_saveexec_b32 s1, s0
	v_mul_u32_u24_e32 v3, 0x145, v0
	v_lshlrev_b64 v[184:185], 4, v[1:2]
	v_lshlrev_b32_e32 v0, 4, v182
	v_or_b32_e32 v180, 0xd0, v182
	v_lshlrev_b32_e32 v170, 4, v3
	s_xor_b32 exec_lo, exec_lo, s1
	s_cbranch_execz .LBB0_13
; %bb.12:
	v_mov_b32_e32 v183, 0
	v_add_co_u32 v45, s0, s2, v184
	v_add_co_ci_u32_e64 v46, s0, s3, v185, s0
	v_lshlrev_b64 v[1:2], 4, v[182:183]
	v_mov_b32_e32 v181, v183
	v_add3_u32 v101, 0, v170, v0
	v_lshlrev_b64 v[43:44], 4, v[180:181]
	v_add_co_u32 v41, s0, v45, v1
	v_add_co_ci_u32_e64 v42, s0, v46, v2, s0
	s_clause 0x9
	global_load_dwordx4 v[1:4], v[41:42], off
	global_load_dwordx4 v[5:8], v[41:42], off offset:208
	global_load_dwordx4 v[9:12], v[41:42], off offset:416
	;; [unrolled: 1-line block ×9, first 2 shown]
	v_add_co_u32 v77, s0, 0x800, v41
	v_add_co_ci_u32_e64 v78, s0, 0, v42, s0
	v_add_co_u32 v65, s0, v45, v43
	v_add_co_ci_u32_e64 v66, s0, v46, v44, s0
	v_add_co_u32 v97, s0, 0x1000, v41
	v_add_co_ci_u32_e64 v98, s0, 0, v42, s0
	s_clause 0xe
	global_load_dwordx4 v[41:44], v[77:78], off offset:32
	global_load_dwordx4 v[45:48], v[77:78], off offset:240
	;; [unrolled: 1-line block ×6, first 2 shown]
	global_load_dwordx4 v[65:68], v[65:66], off
	global_load_dwordx4 v[69:72], v[77:78], off offset:1488
	global_load_dwordx4 v[73:76], v[77:78], off offset:1696
	;; [unrolled: 1-line block ×8, first 2 shown]
	s_waitcnt vmcnt(24)
	ds_write_b128 v101, v[1:4]
	s_waitcnt vmcnt(23)
	ds_write_b128 v101, v[5:8] offset:208
	s_waitcnt vmcnt(22)
	ds_write_b128 v101, v[9:12] offset:416
	;; [unrolled: 2-line block ×24, first 2 shown]
.LBB0_13:
	s_or_b32 exec_lo, exec_lo, s1
	v_add_nc_u32_e32 v1, 0, v0
	v_add_nc_u32_e32 v124, 0, v170
	s_waitcnt lgkmcnt(0)
	s_barrier
	buffer_gl0_inv
	v_add_nc_u32_e32 v181, v1, v170
	v_add_nc_u32_e32 v188, v124, v0
	s_mov_b32 s36, 0x4267c47c
	s_mov_b32 s4, 0xe00740e9
	;; [unrolled: 1-line block ×3, first 2 shown]
	ds_read_b128 v[24:27], v181 offset:400
	ds_read_b128 v[20:23], v188
	ds_read_b128 v[28:31], v181 offset:800
	ds_read_b128 v[32:35], v181 offset:1200
	;; [unrolled: 1-line block ×8, first 2 shown]
	s_mov_b32 s5, 0x3fec55a7
	s_mov_b32 s34, 0x42a4c3d2
	;; [unrolled: 1-line block ×12, first 2 shown]
	s_waitcnt lgkmcnt(8)
	v_add_f64 v[0:1], v[20:21], v[24:25]
	v_add_f64 v[2:3], v[22:23], v[26:27]
	s_mov_b32 s27, 0x3fe22d96
	s_mov_b32 s19, 0x3fddbe06
	;; [unrolled: 1-line block ×3, first 2 shown]
	s_waitcnt lgkmcnt(2)
	v_add_f64 v[40:41], v[44:45], v[56:57]
	s_waitcnt lgkmcnt(1)
	v_add_f64 v[72:73], v[26:27], -v[127:128]
	v_add_f64 v[26:27], v[26:27], v[127:128]
	v_add_f64 v[48:49], v[46:47], v[58:59]
	v_add_f64 v[42:43], v[44:45], -v[56:57]
	v_add_f64 v[50:51], v[46:47], -v[58:59]
	s_waitcnt lgkmcnt(0)
	v_add_f64 v[68:69], v[54:55], v[102:103]
	v_add_f64 v[70:71], v[54:55], -v[102:103]
	s_mov_b32 s14, 0xebaa3ed8
	s_mov_b32 s16, 0xb2365da1
	;; [unrolled: 1-line block ×9, first 2 shown]
	v_add_f64 v[0:1], v[0:1], v[28:29]
	v_add_f64 v[2:3], v[2:3], v[30:31]
	s_mov_b32 s38, s34
	s_mov_b32 s25, 0x3fefc445
	;; [unrolled: 1-line block ×4, first 2 shown]
	v_mul_f64 v[112:113], v[72:73], s[20:21]
	v_mul_f64 v[114:115], v[26:27], s[4:5]
	;; [unrolled: 1-line block ×8, first 2 shown]
	s_mov_b32 s41, 0x3fcea1e5
	s_mov_b32 s24, s28
	;; [unrolled: 1-line block ×5, first 2 shown]
	v_mul_f64 v[74:75], v[68:69], s[10:11]
	s_mov_b32 s1, exec_lo
	v_add_f64 v[0:1], v[0:1], v[32:33]
	v_add_f64 v[2:3], v[2:3], v[34:35]
	;; [unrolled: 1-line block ×6, first 2 shown]
	ds_read_b128 v[104:107], v181 offset:3600
	ds_read_b128 v[0:3], v181 offset:208
	ds_read_b128 v[16:19], v181 offset:608
	ds_read_b128 v[12:15], v181 offset:1008
	ds_read_b128 v[108:111], v181 offset:4000
	ds_read_b128 v[8:11], v181 offset:1408
	ds_read_b128 v[129:132], v181 offset:4400
	ds_read_b128 v[4:7], v181 offset:1808
	v_mul_f64 v[54:55], v[72:73], s[34:35]
	s_waitcnt lgkmcnt(7)
	v_add_f64 v[64:65], v[36:37], v[104:105]
	v_add_f64 v[84:85], v[38:39], v[106:107]
	v_add_f64 v[66:67], v[36:37], -v[104:105]
	v_add_f64 v[86:87], v[38:39], -v[106:107]
	s_waitcnt lgkmcnt(3)
	v_add_f64 v[76:77], v[32:33], v[108:109]
	v_add_f64 v[36:37], v[34:35], v[110:111]
	s_waitcnt lgkmcnt(1)
	v_add_f64 v[116:117], v[30:31], -v[131:132]
	v_add_f64 v[60:61], v[60:61], v[44:45]
	v_add_f64 v[62:63], v[62:63], v[46:47]
	v_add_f64 v[44:45], v[52:53], v[100:101]
	v_add_f64 v[46:47], v[52:53], -v[100:101]
	v_add_f64 v[30:31], v[30:31], v[131:132]
	v_add_f64 v[38:39], v[34:35], -v[110:111]
	v_add_f64 v[78:79], v[32:33], -v[108:109]
	v_add_f64 v[94:95], v[28:29], v[129:130]
	v_add_f64 v[92:93], v[28:29], -v[129:130]
	v_add_f64 v[28:29], v[24:25], v[125:126]
	v_add_f64 v[24:25], v[24:25], -v[125:126]
	v_mul_f64 v[32:33], v[72:73], s[36:37]
	v_mul_f64 v[82:83], v[84:85], s[16:17]
	;; [unrolled: 1-line block ×7, first 2 shown]
	v_add_f64 v[34:35], v[60:61], v[56:57]
	v_add_f64 v[52:53], v[62:63], v[58:59]
	v_mul_f64 v[56:57], v[72:73], s[28:29]
	v_mul_f64 v[58:59], v[72:73], s[22:23]
	;; [unrolled: 1-line block ×7, first 2 shown]
	v_fma_f64 v[157:158], v[28:29], s[26:27], v[54:55]
	v_fma_f64 v[139:140], v[24:25], s[18:19], v[114:115]
	v_fma_f64 v[54:55], v[28:29], s[26:27], -v[54:55]
	v_fma_f64 v[167:168], v[28:29], s[6:7], v[118:119]
	v_fma_f64 v[171:172], v[28:29], s[6:7], -v[118:119]
	v_fma_f64 v[118:119], v[24:25], s[34:35], v[120:121]
	v_mul_f64 v[143:144], v[36:37], s[6:7]
	v_mul_f64 v[151:152], v[30:31], s[6:7]
	;; [unrolled: 1-line block ×3, first 2 shown]
	v_fma_f64 v[173:174], v[24:25], s[42:43], v[133:134]
	v_fma_f64 v[133:134], v[24:25], s[22:23], v[133:134]
	;; [unrolled: 1-line block ×4, first 2 shown]
	v_add_f64 v[34:35], v[34:35], v[100:101]
	v_add_f64 v[52:53], v[52:53], v[102:103]
	v_fma_f64 v[102:103], v[28:29], s[4:5], v[32:33]
	v_mul_f64 v[100:101], v[116:117], s[22:23]
	v_fma_f64 v[32:33], v[28:29], s[4:5], -v[32:33]
	v_fma_f64 v[159:160], v[28:29], s[14:15], v[56:57]
	v_fma_f64 v[56:57], v[28:29], s[14:15], -v[56:57]
	v_fma_f64 v[161:162], v[28:29], s[16:17], v[58:59]
	;; [unrolled: 2-line block ×3, first 2 shown]
	v_add_f64 v[139:140], v[22:23], v[139:140]
	v_fma_f64 v[177:178], v[24:25], s[40:41], v[26:27]
	v_fma_f64 v[186:187], v[24:25], s[12:13], v[26:27]
	;; [unrolled: 1-line block ×4, first 2 shown]
	v_add_f64 v[54:55], v[20:21], v[54:55]
	v_add_f64 v[201:202], v[22:23], v[118:119]
	v_mul_f64 v[72:73], v[70:71], s[20:21]
	v_mul_f64 v[155:156], v[36:37], s[16:17]
	;; [unrolled: 1-line block ×3, first 2 shown]
	v_add_f64 v[173:174], v[22:23], v[173:174]
	v_mul_f64 v[60:61], v[50:51], s[12:13]
	v_add_f64 v[34:35], v[34:35], v[104:105]
	v_add_f64 v[52:53], v[52:53], v[106:107]
	v_fma_f64 v[104:105], v[28:29], s[10:11], v[112:113]
	v_fma_f64 v[106:107], v[94:95], s[26:27], v[98:99]
	v_add_f64 v[102:103], v[20:21], v[102:103]
	v_fma_f64 v[112:113], v[28:29], s[10:11], -v[112:113]
	v_fma_f64 v[28:29], v[24:25], s[36:37], v[114:115]
	v_fma_f64 v[114:115], v[24:25], s[38:39], v[120:121]
	;; [unrolled: 1-line block ×5, first 2 shown]
	v_add_f64 v[139:140], v[163:164], v[139:140]
	v_fma_f64 v[163:164], v[92:93], s[42:43], v[137:138]
	v_fma_f64 v[199:200], v[94:95], s[16:17], -v[100:101]
	v_fma_f64 v[137:138], v[92:93], s[22:23], v[137:138]
	v_add_f64 v[159:160], v[20:21], v[159:160]
	v_add_f64 v[56:57], v[20:21], v[56:57]
	;; [unrolled: 1-line block ×5, first 2 shown]
	v_fma_f64 v[58:59], v[76:77], s[6:7], v[141:142]
	v_fma_f64 v[133:134], v[64:65], s[16:17], v[80:81]
	v_add_f64 v[34:35], v[34:35], v[108:109]
	v_add_f64 v[52:53], v[52:53], v[110:111]
	;; [unrolled: 1-line block ×11, first 2 shown]
	v_fma_f64 v[20:21], v[94:95], s[6:7], v[149:150]
	v_add_f64 v[203:204], v[22:23], v[120:121]
	v_add_f64 v[122:123], v[22:23], v[122:123]
	;; [unrolled: 1-line block ×6, first 2 shown]
	v_fma_f64 v[22:23], v[92:93], s[40:41], v[151:152]
	v_add_f64 v[139:140], v[193:194], v[139:140]
	v_fma_f64 v[149:150], v[94:95], s[6:7], -v[149:150]
	v_fma_f64 v[151:152], v[92:93], s[12:13], v[151:152]
	v_add_f64 v[54:55], v[199:200], v[54:55]
	v_fma_f64 v[167:168], v[78:79], s[40:41], v[143:144]
	v_fma_f64 v[141:142], v[76:77], s[6:7], -v[141:142]
	v_add_f64 v[129:130], v[34:35], v[129:130]
	v_add_f64 v[135:136], v[191:192], v[195:196]
	v_fma_f64 v[34:35], v[78:79], s[12:13], v[143:144]
	v_add_f64 v[137:138], v[137:138], v[201:202]
	v_add_f64 v[32:33], v[197:198], v[32:33]
	;; [unrolled: 1-line block ×3, first 2 shown]
	v_fma_f64 v[157:158], v[66:67], s[42:43], v[82:83]
	v_mul_f64 v[163:164], v[30:31], s[10:11]
	v_fma_f64 v[143:144], v[76:77], s[16:17], v[153:154]
	v_add_f64 v[20:21], v[20:21], v[159:160]
	v_mul_f64 v[62:63], v[48:49], s[6:7]
	v_mul_f64 v[171:172], v[86:87], s[18:19]
	v_fma_f64 v[159:160], v[94:95], s[10:11], v[189:190]
	v_fma_f64 v[175:176], v[64:65], s[10:11], v[145:146]
	v_add_f64 v[131:132], v[52:53], v[131:132]
	v_add_f64 v[22:23], v[22:23], v[203:204]
	v_mul_f64 v[52:53], v[70:71], s[24:25]
	v_add_f64 v[149:150], v[149:150], v[56:57]
	v_fma_f64 v[56:57], v[78:79], s[22:23], v[155:156]
	v_add_f64 v[151:152], v[151:152], v[122:123]
	v_mul_f64 v[122:123], v[68:69], s[14:15]
	v_add_f64 v[54:55], v[141:142], v[54:55]
	v_mul_f64 v[141:142], v[38:39], s[18:19]
	v_add_f64 v[133:134], v[133:134], v[135:136]
	v_fma_f64 v[135:136], v[46:47], s[30:31], v[74:75]
	v_add_f64 v[137:138], v[34:35], v[137:138]
	v_add_f64 v[32:33], v[58:59], v[32:33]
	v_fma_f64 v[58:59], v[44:45], s[10:11], v[72:73]
	v_add_f64 v[139:140], v[157:158], v[139:140]
	v_fma_f64 v[157:158], v[92:93], s[20:21], v[163:164]
	;; [unrolled: 2-line block ×3, first 2 shown]
	v_fma_f64 v[147:148], v[66:67], s[30:31], v[147:148]
	v_add_f64 v[20:21], v[143:144], v[20:21]
	v_mul_f64 v[143:144], v[36:37], s[4:5]
	v_fma_f64 v[145:146], v[64:65], s[10:11], -v[145:146]
	v_fma_f64 v[177:178], v[64:65], s[4:5], v[171:172]
	v_add_f64 v[159:160], v[159:160], v[161:162]
	v_fma_f64 v[161:162], v[40:41], s[6:7], v[60:61]
	v_mul_f64 v[34:35], v[86:87], s[28:29]
	v_add_f64 v[191:192], v[56:57], v[22:23]
	v_fma_f64 v[22:23], v[76:77], s[16:17], -v[153:154]
	v_fma_f64 v[155:156], v[78:79], s[42:43], v[155:156]
	v_fma_f64 v[189:190], v[94:95], s[10:11], -v[189:190]
	v_fma_f64 v[186:187], v[44:45], s[14:15], v[52:53]
	v_fma_f64 v[195:196], v[44:45], s[14:15], -v[52:53]
	v_fma_f64 v[197:198], v[46:47], s[24:25], v[122:123]
	v_add_f64 v[56:57], v[129:130], v[125:126]
	v_add_f64 v[175:176], v[175:176], v[32:33]
	;; [unrolled: 1-line block ×3, first 2 shown]
	v_fma_f64 v[133:134], v[42:43], s[40:41], v[62:63]
	v_add_f64 v[135:136], v[135:136], v[139:140]
	v_mul_f64 v[139:140], v[84:85], s[4:5]
	v_add_f64 v[157:158], v[157:158], v[173:174]
	v_mul_f64 v[173:174], v[70:71], s[34:35]
	;; [unrolled: 2-line block ×3, first 2 shown]
	v_fma_f64 v[167:168], v[46:47], s[28:29], v[122:123]
	v_add_f64 v[137:138], v[147:148], v[137:138]
	v_fma_f64 v[147:148], v[76:77], s[4:5], v[141:142]
	v_fma_f64 v[193:194], v[78:79], s[36:37], v[143:144]
	v_add_f64 v[145:146], v[145:146], v[54:55]
	v_add_f64 v[177:178], v[177:178], v[20:21]
	v_mul_f64 v[129:130], v[68:69], s[26:27]
	v_mul_f64 v[122:123], v[30:31], s[14:15]
	v_fma_f64 v[141:142], v[76:77], s[4:5], -v[141:142]
	v_fma_f64 v[163:164], v[92:93], s[30:31], v[163:164]
	v_fma_f64 v[143:144], v[78:79], s[18:19], v[143:144]
	v_add_f64 v[104:105], v[186:187], v[175:176]
	v_add_f64 v[52:53], v[161:162], v[58:59]
	;; [unrolled: 1-line block ×4, first 2 shown]
	v_fma_f64 v[125:126], v[66:67], s[36:37], v[139:140]
	v_add_f64 v[131:132], v[22:23], v[149:150]
	v_fma_f64 v[127:128], v[44:45], s[26:27], v[173:174]
	v_mul_f64 v[133:134], v[116:117], s[24:25]
	v_add_f64 v[135:136], v[155:156], v[151:152]
	v_fma_f64 v[149:150], v[64:65], s[4:5], -v[171:172]
	v_fma_f64 v[139:140], v[66:67], s[18:19], v[139:140]
	v_add_f64 v[151:152], v[167:168], v[153:154]
	v_add_f64 v[147:148], v[147:148], v[159:160]
	;; [unrolled: 1-line block ×3, first 2 shown]
	v_fma_f64 v[155:156], v[64:65], s[14:15], v[34:35]
	v_fma_f64 v[157:158], v[66:67], s[24:25], v[32:33]
	v_mul_f64 v[159:160], v[70:71], s[40:41]
	v_add_f64 v[161:162], v[189:190], v[26:27]
	v_mul_f64 v[167:168], v[68:69], s[6:7]
	v_fma_f64 v[171:172], v[46:47], s[38:39], v[129:130]
	v_mul_f64 v[186:187], v[38:39], s[34:35]
	v_mul_f64 v[189:190], v[36:37], s[26:27]
	v_fma_f64 v[129:130], v[46:47], s[34:35], v[129:130]
	v_mul_f64 v[116:117], v[116:117], s[18:19]
	v_add_f64 v[163:164], v[163:164], v[24:25]
	v_add_f64 v[145:146], v[195:196], v[145:146]
	;; [unrolled: 1-line block ×5, first 2 shown]
	v_fma_f64 v[175:176], v[94:95], s[14:15], v[133:134]
	v_fma_f64 v[177:178], v[92:93], s[28:29], v[122:123]
	v_add_f64 v[131:132], v[149:150], v[131:132]
	v_add_f64 v[135:136], v[139:140], v[135:136]
	v_fma_f64 v[139:140], v[44:45], s[26:27], -v[173:174]
	v_fma_f64 v[133:134], v[94:95], s[14:15], -v[133:134]
	v_fma_f64 v[122:123], v[92:93], s[24:25], v[122:123]
	v_add_f64 v[147:148], v[155:156], v[147:148]
	v_add_f64 v[149:150], v[157:158], v[153:154]
	v_fma_f64 v[153:154], v[44:45], s[6:7], v[159:160]
	v_add_f64 v[141:142], v[141:142], v[161:162]
	v_fma_f64 v[155:156], v[46:47], s[12:13], v[167:168]
	v_fma_f64 v[157:158], v[64:65], s[14:15], -v[34:35]
	v_mul_f64 v[161:162], v[30:31], s[4:5]
	v_fma_f64 v[173:174], v[76:77], s[26:27], v[186:187]
	v_fma_f64 v[159:160], v[44:45], s[6:7], -v[159:160]
	v_fma_f64 v[167:168], v[46:47], s[40:41], v[167:168]
	v_add_f64 v[143:144], v[143:144], v[163:164]
	v_fma_f64 v[163:164], v[66:67], s[28:29], v[32:33]
	v_add_f64 v[125:126], v[171:172], v[125:126]
	ds_read_b128 v[20:23], v181 offset:2208
	ds_read_b128 v[24:27], v181 offset:2608
	v_add_f64 v[171:172], v[175:176], v[28:29]
	v_add_f64 v[120:121], v[177:178], v[120:121]
	v_fma_f64 v[175:176], v[78:79], s[38:39], v[189:190]
	v_mul_f64 v[177:178], v[50:51], s[18:19]
	v_add_f64 v[131:132], v[139:140], v[131:132]
	v_add_f64 v[129:130], v[129:130], v[135:136]
	v_fma_f64 v[135:136], v[76:77], s[26:27], -v[186:187]
	v_mul_f64 v[186:187], v[36:37], s[10:11]
	v_add_f64 v[118:119], v[133:134], v[118:119]
	v_add_f64 v[139:140], v[153:154], v[147:148]
	v_fma_f64 v[153:154], v[94:95], s[4:5], v[116:117]
	v_add_f64 v[149:150], v[155:156], v[149:150]
	v_add_f64 v[141:142], v[157:158], v[141:142]
	v_fma_f64 v[155:156], v[92:93], s[36:37], v[161:162]
	v_mul_f64 v[157:158], v[38:39], s[20:21]
	v_fma_f64 v[116:117], v[94:95], s[4:5], -v[116:117]
	v_fma_f64 v[161:162], v[92:93], s[18:19], v[161:162]
	v_fma_f64 v[94:95], v[94:95], s[26:27], -v[98:99]
	v_fma_f64 v[92:93], v[92:93], s[34:35], v[96:97]
	v_add_f64 v[114:115], v[122:123], v[114:115]
	v_mul_f64 v[98:99], v[86:87], s[40:41]
	v_mul_f64 v[96:97], v[84:85], s[6:7]
	v_add_f64 v[171:172], v[173:174], v[171:172]
	v_mul_f64 v[86:87], v[86:87], s[38:39]
	v_add_f64 v[120:121], v[175:176], v[120:121]
	v_fma_f64 v[122:123], v[40:41], s[4:5], v[177:178]
	v_fma_f64 v[173:174], v[40:41], s[4:5], -v[177:178]
	v_fma_f64 v[175:176], v[78:79], s[34:35], v[189:190]
	v_mul_f64 v[84:85], v[84:85], s[26:27]
	v_fma_f64 v[177:178], v[78:79], s[20:21], v[186:187]
	v_add_f64 v[118:119], v[135:136], v[118:119]
	v_mul_f64 v[133:134], v[48:49], s[4:5]
	v_add_f64 v[110:111], v[153:154], v[110:111]
	v_mul_f64 v[147:148], v[50:51], s[20:21]
	v_add_f64 v[143:144], v[163:164], v[143:144]
	v_add_f64 v[112:113], v[155:156], v[112:113]
	v_fma_f64 v[153:154], v[76:77], s[10:11], v[157:158]
	v_add_f64 v[108:109], v[116:117], v[108:109]
	v_add_f64 v[106:107], v[161:162], v[106:107]
	v_fma_f64 v[161:162], v[78:79], s[30:31], v[186:187]
	v_fma_f64 v[157:158], v[76:77], s[10:11], -v[157:158]
	v_add_f64 v[94:95], v[94:95], v[102:103]
	v_add_f64 v[92:93], v[92:93], v[100:101]
	v_fma_f64 v[76:77], v[76:77], s[14:15], -v[90:91]
	v_fma_f64 v[78:79], v[78:79], s[28:29], v[88:89]
	v_fma_f64 v[102:103], v[64:65], s[6:7], v[98:99]
	;; [unrolled: 1-line block ×3, first 2 shown]
	v_mul_f64 v[88:89], v[70:71], s[18:19]
	v_fma_f64 v[98:99], v[64:65], s[6:7], -v[98:99]
	v_add_f64 v[114:115], v[175:176], v[114:115]
	v_mul_f64 v[175:176], v[68:69], s[4:5]
	v_fma_f64 v[96:97], v[66:67], s[40:41], v[96:97]
	v_mul_f64 v[70:71], v[70:71], s[22:23]
	v_mul_f64 v[68:69], v[68:69], s[16:17]
	;; [unrolled: 1-line block ×4, first 2 shown]
	v_fma_f64 v[135:136], v[42:43], s[36:37], v[133:134]
	v_fma_f64 v[133:134], v[42:43], s[18:19], v[133:134]
	v_add_f64 v[110:111], v[153:154], v[110:111]
	v_mul_f64 v[153:154], v[48:49], s[26:27]
	v_add_f64 v[106:107], v[177:178], v[106:107]
	v_add_f64 v[112:113], v[161:162], v[112:113]
	v_fma_f64 v[161:162], v[64:65], s[26:27], v[86:87]
	v_add_f64 v[108:109], v[157:158], v[108:109]
	v_fma_f64 v[157:158], v[66:67], s[34:35], v[84:85]
	v_fma_f64 v[86:87], v[64:65], s[26:27], -v[86:87]
	v_fma_f64 v[84:85], v[66:67], s[38:39], v[84:85]
	v_add_f64 v[76:77], v[76:77], v[94:95]
	v_add_f64 v[78:79], v[78:79], v[92:93]
	v_fma_f64 v[64:65], v[64:65], s[16:17], -v[80:81]
	v_fma_f64 v[66:67], v[66:67], s[22:23], v[82:83]
	v_add_f64 v[102:103], v[102:103], v[171:172]
	v_add_f64 v[100:101], v[100:101], v[120:121]
	v_fma_f64 v[80:81], v[44:45], s[4:5], v[88:89]
	v_fma_f64 v[82:83], v[46:47], s[36:37], v[175:176]
	v_mul_f64 v[92:93], v[50:51], s[22:23]
	v_mul_f64 v[94:95], v[48:49], s[16:17]
	v_add_f64 v[98:99], v[98:99], v[118:119]
	v_add_f64 v[96:97], v[96:97], v[114:115]
	v_fma_f64 v[88:89], v[44:45], s[4:5], -v[88:89]
	v_fma_f64 v[114:115], v[46:47], s[18:19], v[175:176]
	v_fma_f64 v[118:119], v[44:45], s[16:17], v[70:71]
	;; [unrolled: 1-line block ×3, first 2 shown]
	v_mul_f64 v[50:51], v[50:51], s[24:25]
	v_add_f64 v[110:111], v[161:162], v[110:111]
	v_mul_f64 v[48:49], v[48:49], s[14:15]
	v_add_f64 v[112:113], v[157:158], v[112:113]
	v_add_f64 v[86:87], v[86:87], v[108:109]
	;; [unrolled: 1-line block ×3, first 2 shown]
	v_fma_f64 v[70:71], v[44:45], s[16:17], -v[70:71]
	v_fma_f64 v[68:69], v[46:47], s[22:23], v[68:69]
	v_add_f64 v[64:65], v[64:65], v[76:77]
	v_add_f64 v[66:67], v[66:67], v[78:79]
	v_fma_f64 v[44:45], v[44:45], s[10:11], -v[72:73]
	v_fma_f64 v[46:47], v[46:47], s[20:21], v[74:75]
	v_fma_f64 v[155:156], v[40:41], s[10:11], v[147:148]
	;; [unrolled: 1-line block ×3, first 2 shown]
	v_fma_f64 v[147:148], v[40:41], s[10:11], -v[147:148]
	v_fma_f64 v[163:164], v[42:43], s[20:21], v[163:164]
	v_fma_f64 v[106:107], v[40:41], s[26:27], v[90:91]
	;; [unrolled: 1-line block ×3, first 2 shown]
	v_add_f64 v[72:73], v[159:160], v[141:142]
	v_fma_f64 v[141:142], v[40:41], s[26:27], -v[90:91]
	v_add_f64 v[76:77], v[80:81], v[102:103]
	v_add_f64 v[78:79], v[82:83], v[100:101]
	v_fma_f64 v[80:81], v[40:41], s[16:17], v[92:93]
	v_fma_f64 v[82:83], v[42:43], s[42:43], v[94:95]
	v_fma_f64 v[157:158], v[40:41], s[16:17], -v[92:93]
	v_add_f64 v[110:111], v[118:119], v[110:111]
	v_add_f64 v[112:113], v[120:121], v[112:113]
	v_fma_f64 v[118:119], v[40:41], s[14:15], v[50:51]
	v_fma_f64 v[120:121], v[42:43], s[28:29], v[48:49]
	v_add_f64 v[70:71], v[70:71], v[86:87]
	v_add_f64 v[68:69], v[68:69], v[84:85]
	v_fma_f64 v[50:51], v[40:41], s[14:15], -v[50:51]
	v_fma_f64 v[48:49], v[42:43], s[24:25], v[48:49]
	v_fma_f64 v[159:160], v[42:43], s[22:23], v[94:95]
	;; [unrolled: 1-line block ×3, first 2 shown]
	v_add_f64 v[44:45], v[44:45], v[64:65]
	v_add_f64 v[46:47], v[46:47], v[66:67]
	v_fma_f64 v[40:41], v[40:41], s[6:7], -v[60:61]
	v_fma_f64 v[42:43], v[42:43], s[12:13], v[62:63]
	v_add_f64 v[74:75], v[167:168], v[143:144]
	v_add_f64 v[143:144], v[88:89], v[98:99]
	;; [unrolled: 1-line block ×3, first 2 shown]
	ds_read_b128 v[32:35], v181 offset:3008
	ds_read_b128 v[28:31], v181 offset:3408
	;; [unrolled: 1-line block ×3, first 2 shown]
	v_add_f64 v[88:89], v[80:81], v[76:77]
	v_add_f64 v[90:91], v[82:83], v[78:79]
	;; [unrolled: 1-line block ×16, first 2 shown]
	ds_read_b128 v[48:51], v181 offset:4208
	ds_read_b128 v[44:47], v181 offset:4608
	;; [unrolled: 1-line block ×3, first 2 shown]
	v_add_f64 v[76:77], v[157:158], v[143:144]
	v_add_f64 v[78:79], v[159:160], v[114:115]
	;; [unrolled: 1-line block ×6, first 2 shown]
	v_mad_u32_u24 v104, 0xd0, v182, v124
	s_waitcnt lgkmcnt(0)
	s_barrier
	buffer_gl0_inv
	ds_write_b128 v104, v[56:59]
	ds_write_b128 v104, v[52:55] offset:16
	ds_write_b128 v104, v[100:103] offset:32
	;; [unrolled: 1-line block ×12, first 2 shown]
	v_cmpx_gt_u32_e32 12, v182
	s_cbranch_execz .LBB0_15
; %bb.14:
	v_add_f64 v[80:81], v[16:17], -v[40:41]
	v_add_f64 v[96:97], v[18:19], -v[42:43]
	;; [unrolled: 1-line block ×4, first 2 shown]
	v_add_f64 v[86:87], v[18:19], v[42:43]
	v_add_f64 v[88:89], v[16:17], v[40:41]
	v_add_f64 v[84:85], v[8:9], -v[48:49]
	v_add_f64 v[90:91], v[10:11], -v[50:51]
	v_add_f64 v[82:83], v[14:15], v[46:47]
	v_add_f64 v[102:103], v[12:13], v[44:45]
	v_add_f64 v[72:73], v[4:5], -v[36:37]
	v_add_f64 v[74:75], v[10:11], v[50:51]
	v_add_f64 v[78:79], v[6:7], -v[38:39]
	;; [unrolled: 2-line block ×4, first 2 shown]
	v_add_f64 v[68:69], v[4:5], v[36:37]
	v_add_f64 v[18:19], v[2:3], v[18:19]
	;; [unrolled: 1-line block ×3, first 2 shown]
	v_add_f64 v[58:59], v[24:25], -v[32:33]
	v_add_f64 v[54:55], v[22:23], v[30:31]
	v_mul_f64 v[98:99], v[80:81], s[12:13]
	v_mul_f64 v[100:101], v[96:97], s[12:13]
	v_mul_f64 v[104:105], v[80:81], s[20:21]
	v_mul_f64 v[106:107], v[96:97], s[20:21]
	v_mul_f64 v[110:111], v[92:93], s[18:19]
	v_mul_f64 v[112:113], v[94:95], s[18:19]
	v_mul_f64 v[118:119], v[84:85], s[20:21]
	v_mul_f64 v[126:127], v[90:91], s[20:21]
	v_mul_f64 v[134:135], v[92:93], s[24:25]
	v_mul_f64 v[138:139], v[94:95], s[24:25]
	v_mul_f64 v[116:117], v[72:73], s[38:39]
	v_mul_f64 v[142:143], v[84:85], s[34:35]
	v_mul_f64 v[124:125], v[78:79], s[38:39]
	v_mul_f64 v[150:151], v[90:91], s[34:35]
	v_mul_f64 v[154:155], v[80:81], s[22:23]
	v_add_f64 v[62:63], v[26:27], -v[34:35]
	v_add_f64 v[60:61], v[20:21], v[28:29]
	v_mul_f64 v[114:115], v[64:65], s[22:23]
	v_mul_f64 v[122:123], v[70:71], s[22:23]
	;; [unrolled: 1-line block ×5, first 2 shown]
	v_fma_f64 v[130:131], v[86:87], s[6:7], v[98:99]
	v_fma_f64 v[132:133], v[88:89], s[6:7], -v[100:101]
	v_fma_f64 v[98:99], v[86:87], s[6:7], -v[98:99]
	v_fma_f64 v[100:101], v[88:89], s[6:7], v[100:101]
	v_fma_f64 v[156:157], v[86:87], s[10:11], v[104:105]
	v_fma_f64 v[158:159], v[88:89], s[10:11], -v[106:107]
	v_fma_f64 v[104:105], v[86:87], s[10:11], -v[104:105]
	v_fma_f64 v[160:161], v[82:83], s[4:5], v[110:111]
	v_fma_f64 v[162:163], v[102:103], s[4:5], -v[112:113]
	v_fma_f64 v[110:111], v[82:83], s[4:5], -v[110:111]
	v_fma_f64 v[112:113], v[102:103], s[4:5], v[112:113]
	v_fma_f64 v[191:192], v[82:83], s[14:15], v[134:135]
	v_fma_f64 v[193:194], v[102:103], s[14:15], -v[138:139]
	v_fma_f64 v[134:135], v[82:83], s[14:15], -v[134:135]
	v_fma_f64 v[195:196], v[74:75], s[10:11], v[118:119]
	v_fma_f64 v[197:198], v[76:77], s[10:11], -v[126:127]
	v_fma_f64 v[118:119], v[74:75], s[10:11], -v[118:119]
	v_fma_f64 v[126:127], v[76:77], s[10:11], v[126:127]
	v_mul_f64 v[177:178], v[96:97], s[22:23]
	v_mul_f64 v[199:200], v[96:97], s[28:29]
	v_fma_f64 v[203:204], v[68:69], s[26:27], -v[124:125]
	v_fma_f64 v[124:125], v[68:69], s[26:27], v[124:125]
	v_add_f64 v[130:131], v[2:3], v[130:131]
	v_add_f64 v[132:133], v[0:1], v[132:133]
	v_add_f64 v[98:99], v[2:3], v[98:99]
	v_add_f64 v[100:101], v[0:1], v[100:101]
	v_add_f64 v[156:157], v[2:3], v[156:157]
	v_add_f64 v[158:159], v[0:1], v[158:159]
	v_add_f64 v[104:105], v[2:3], v[104:105]
	v_add_f64 v[52:53], v[26:27], v[34:35]
	v_add_f64 v[56:57], v[24:25], v[32:33]
	v_mul_f64 v[108:109], v[58:59], s[24:25]
	v_mul_f64 v[120:121], v[62:63], s[24:25]
	;; [unrolled: 1-line block ×13, first 2 shown]
	v_add_f64 v[130:131], v[160:161], v[130:131]
	v_add_f64 v[132:133], v[162:163], v[132:133]
	;; [unrolled: 1-line block ×6, first 2 shown]
	v_mul_f64 v[160:161], v[80:81], s[28:29]
	v_fma_f64 v[12:13], v[88:89], s[10:11], v[106:107]
	v_fma_f64 v[14:15], v[86:87], s[16:17], v[154:155]
	;; [unrolled: 1-line block ×3, first 2 shown]
	v_fma_f64 v[18:19], v[76:77], s[26:27], -v[150:151]
	v_fma_f64 v[106:107], v[74:75], s[26:27], -v[142:143]
	v_fma_f64 v[142:143], v[66:67], s[26:27], v[116:117]
	v_fma_f64 v[116:117], v[66:67], s[26:27], -v[116:117]
	v_add_f64 v[156:157], v[191:192], v[156:157]
	v_add_f64 v[158:159], v[193:194], v[158:159]
	;; [unrolled: 1-line block ×3, first 2 shown]
	v_fma_f64 v[134:135], v[66:67], s[6:7], v[140:141]
	v_fma_f64 v[191:192], v[88:89], s[16:17], -v[177:178]
	v_fma_f64 v[140:141], v[66:67], s[6:7], -v[140:141]
	v_fma_f64 v[193:194], v[54:55], s[16:17], v[114:115]
	v_fma_f64 v[114:115], v[54:55], s[16:17], -v[114:115]
	v_add_f64 v[130:131], v[195:196], v[130:131]
	v_add_f64 v[132:133], v[197:198], v[132:133]
	v_add_f64 v[98:99], v[118:119], v[98:99]
	v_add_f64 v[100:101], v[126:127], v[100:101]
	v_fma_f64 v[118:119], v[102:103], s[14:15], v[138:139]
	v_fma_f64 v[126:127], v[82:83], s[10:11], v[167:168]
	v_fma_f64 v[138:139], v[68:69], s[6:7], -v[148:149]
	v_fma_f64 v[195:196], v[60:61], s[16:17], -v[122:123]
	v_fma_f64 v[122:123], v[60:61], s[16:17], v[122:123]
	v_fma_f64 v[154:155], v[86:87], s[16:17], -v[154:155]
	v_add_f64 v[12:13], v[0:1], v[12:13]
	v_add_f64 v[14:15], v[2:3], v[14:15]
	v_mul_f64 v[162:163], v[90:91], s[42:43]
	v_fma_f64 v[197:198], v[52:53], s[14:15], v[108:109]
	v_add_f64 v[16:17], v[16:17], v[156:157]
	v_add_f64 v[18:19], v[18:19], v[158:159]
	;; [unrolled: 1-line block ×3, first 2 shown]
	v_fma_f64 v[156:157], v[88:89], s[14:15], -v[199:200]
	v_fma_f64 v[205:206], v[56:57], s[14:15], -v[120:121]
	v_fma_f64 v[108:109], v[52:53], s[14:15], -v[108:109]
	v_fma_f64 v[158:159], v[60:61], s[4:5], -v[146:147]
	v_fma_f64 v[120:121], v[56:57], s[14:15], v[120:121]
	v_add_f64 v[106:107], v[142:143], v[130:131]
	v_add_f64 v[130:131], v[203:204], v[132:133]
	;; [unrolled: 1-line block ×4, first 2 shown]
	v_fma_f64 v[116:117], v[88:89], s[16:17], v[177:178]
	v_fma_f64 v[142:143], v[86:87], s[14:15], v[160:161]
	;; [unrolled: 1-line block ×3, first 2 shown]
	v_fma_f64 v[132:133], v[102:103], s[10:11], -v[175:176]
	v_fma_f64 v[150:151], v[54:55], s[4:5], v[136:137]
	v_fma_f64 v[136:137], v[54:55], s[4:5], -v[136:137]
	v_fma_f64 v[203:204], v[56:57], s[16:17], -v[144:145]
	v_add_f64 v[191:192], v[0:1], v[191:192]
	v_add_f64 v[12:13], v[118:119], v[12:13]
	;; [unrolled: 1-line block ×7, first 2 shown]
	v_fma_f64 v[138:139], v[68:69], s[6:7], v[148:149]
	v_fma_f64 v[140:141], v[82:83], s[6:7], v[189:190]
	v_fma_f64 v[148:149], v[102:103], s[6:7], -v[201:202]
	v_add_f64 v[156:157], v[0:1], v[156:157]
	v_add_f64 v[106:107], v[193:194], v[106:107]
	;; [unrolled: 1-line block ×5, first 2 shown]
	v_fma_f64 v[114:115], v[56:57], s[16:17], v[144:145]
	v_fma_f64 v[122:123], v[82:83], s[10:11], -v[167:168]
	v_fma_f64 v[130:131], v[102:103], s[10:11], v[175:176]
	v_add_f64 v[116:117], v[0:1], v[116:117]
	v_fma_f64 v[144:145], v[74:75], s[4:5], v[164:165]
	v_add_f64 v[142:143], v[2:3], v[142:143]
	v_add_f64 v[10:11], v[110:111], v[10:11]
	;; [unrolled: 1-line block ×3, first 2 shown]
	v_fma_f64 v[154:155], v[76:77], s[4:5], -v[173:174]
	v_add_f64 v[132:133], v[132:133], v[191:192]
	v_add_f64 v[124:125], v[124:125], v[12:13]
	;; [unrolled: 1-line block ×5, first 2 shown]
	v_fma_f64 v[110:111], v[66:67], s[14:15], -v[152:153]
	v_fma_f64 v[112:113], v[82:83], s[6:7], -v[189:190]
	v_mul_f64 v[128:129], v[58:59], s[22:23]
	v_add_f64 v[14:15], v[197:198], v[106:107]
	v_add_f64 v[12:13], v[205:206], v[118:119]
	;; [unrolled: 1-line block ×4, first 2 shown]
	v_fma_f64 v[98:99], v[60:61], s[4:5], v[146:147]
	v_fma_f64 v[100:101], v[74:75], s[4:5], -v[164:165]
	v_fma_f64 v[106:107], v[86:87], s[14:15], -v[160:161]
	v_add_f64 v[108:109], v[122:123], v[134:135]
	v_fma_f64 v[118:119], v[76:77], s[4:5], v[173:174]
	v_add_f64 v[116:117], v[130:131], v[116:117]
	v_mul_f64 v[120:121], v[64:65], s[40:41]
	v_fma_f64 v[122:123], v[66:67], s[14:15], v[152:153]
	v_mul_f64 v[130:131], v[72:73], s[18:19]
	v_fma_f64 v[134:135], v[74:75], s[16:17], v[186:187]
	v_add_f64 v[136:137], v[140:141], v[142:143]
	v_add_f64 v[126:127], v[144:145], v[126:127]
	v_mul_f64 v[142:143], v[78:79], s[18:19]
	v_fma_f64 v[144:145], v[76:77], s[16:17], -v[162:163]
	v_add_f64 v[146:147], v[148:149], v[156:157]
	v_add_f64 v[6:7], v[10:11], v[6:7]
	;; [unrolled: 1-line block ×3, first 2 shown]
	v_mul_f64 v[140:141], v[70:71], s[40:41]
	v_add_f64 v[132:133], v[154:155], v[132:133]
	v_fma_f64 v[152:153], v[88:89], s[14:15], v[199:200]
	v_mul_f64 v[154:155], v[64:65], s[34:35]
	v_fma_f64 v[148:149], v[68:69], s[14:15], -v[171:172]
	v_add_f64 v[124:125], v[138:139], v[124:125]
	v_mul_f64 v[138:139], v[58:59], s[38:39]
	v_add_f64 v[106:107], v[2:3], v[106:107]
	v_add_f64 v[100:101], v[100:101], v[108:109]
	v_fma_f64 v[108:109], v[68:69], s[14:15], v[171:172]
	v_add_f64 v[116:117], v[118:119], v[116:117]
	v_fma_f64 v[118:119], v[54:55], s[6:7], v[120:121]
	v_fma_f64 v[10:11], v[74:75], s[16:17], -v[186:187]
	v_fma_f64 v[156:157], v[66:67], s[4:5], v[130:131]
	v_fma_f64 v[130:131], v[66:67], s[4:5], -v[130:131]
	v_add_f64 v[134:135], v[134:135], v[136:137]
	v_add_f64 v[122:123], v[122:123], v[126:127]
	v_mul_f64 v[136:137], v[70:71], s[34:35]
	v_fma_f64 v[160:161], v[68:69], s[4:5], -v[142:143]
	v_add_f64 v[144:145], v[144:145], v[146:147]
	v_add_f64 v[6:7], v[6:7], v[22:23]
	;; [unrolled: 1-line block ×3, first 2 shown]
	v_fma_f64 v[146:147], v[60:61], s[6:7], -v[140:141]
	v_mul_f64 v[20:21], v[96:97], s[36:37]
	v_mul_f64 v[22:23], v[96:97], s[34:35]
	v_fma_f64 v[8:9], v[54:55], s[6:7], -v[120:121]
	v_add_f64 v[132:133], v[148:149], v[132:133]
	v_add_f64 v[98:99], v[98:99], v[124:125]
	v_fma_f64 v[124:125], v[52:53], s[26:27], v[138:139]
	v_add_f64 v[106:107], v[112:113], v[106:107]
	v_add_f64 v[100:101], v[110:111], v[100:101]
	v_fma_f64 v[110:111], v[60:61], s[6:7], v[140:141]
	v_add_f64 v[108:109], v[108:109], v[116:117]
	v_fma_f64 v[112:113], v[102:103], s[6:7], v[201:202]
	;; [unrolled: 2-line block ×3, first 2 shown]
	v_fma_f64 v[96:97], v[52:53], s[26:27], -v[138:139]
	v_add_f64 v[134:135], v[156:157], v[134:135]
	v_add_f64 v[118:119], v[118:119], v[122:123]
	v_mul_f64 v[122:123], v[80:81], s[34:35]
	v_fma_f64 v[152:153], v[60:61], s[26:27], -v[136:137]
	v_add_f64 v[144:145], v[160:161], v[144:145]
	v_mul_f64 v[80:81], v[80:81], s[36:37]
	v_add_f64 v[6:7], v[6:7], v[26:27]
	v_add_f64 v[4:5], v[4:5], v[24:25]
	v_fma_f64 v[24:25], v[88:89], s[4:5], v[20:21]
	v_fma_f64 v[26:27], v[88:89], s[26:27], v[22:23]
	v_fma_f64 v[22:23], v[88:89], s[26:27], -v[22:23]
	v_fma_f64 v[20:21], v[88:89], s[4:5], -v[20:21]
	v_add_f64 v[132:133], v[146:147], v[132:133]
	v_fma_f64 v[146:147], v[54:55], s[26:27], -v[154:155]
	v_add_f64 v[10:11], v[10:11], v[106:107]
	v_fma_f64 v[106:107], v[76:77], s[16:17], v[162:163]
	v_mul_f64 v[88:89], v[90:91], s[12:13]
	v_mul_f64 v[90:91], v[90:91], s[28:29]
	;; [unrolled: 1-line block ×3, first 2 shown]
	v_add_f64 v[112:113], v[112:113], v[116:117]
	v_mul_f64 v[126:127], v[62:63], s[38:39]
	v_mul_f64 v[148:149], v[62:63], s[20:21]
	v_add_f64 v[116:117], v[140:141], v[134:135]
	v_mul_f64 v[134:135], v[92:93], s[22:23]
	v_fma_f64 v[138:139], v[86:87], s[26:27], -v[122:123]
	v_mul_f64 v[140:141], v[94:95], s[22:23]
	v_add_f64 v[144:145], v[152:153], v[144:145]
	v_mul_f64 v[92:93], v[92:93], s[34:35]
	v_fma_f64 v[152:153], v[86:87], s[4:5], -v[80:81]
	v_mul_f64 v[94:95], v[94:95], s[34:35]
	v_fma_f64 v[122:123], v[86:87], s[26:27], v[122:123]
	v_fma_f64 v[80:81], v[86:87], s[4:5], v[80:81]
	v_add_f64 v[6:7], v[6:7], v[34:35]
	v_add_f64 v[4:5], v[4:5], v[32:33]
	v_mul_f64 v[86:87], v[84:85], s[12:13]
	v_mul_f64 v[84:85], v[84:85], s[28:29]
	v_add_f64 v[24:25], v[0:1], v[24:25]
	v_add_f64 v[10:11], v[130:131], v[10:11]
	v_fma_f64 v[130:131], v[60:61], s[26:27], v[136:137]
	v_fma_f64 v[136:137], v[68:69], s[4:5], v[142:143]
	v_add_f64 v[26:27], v[0:1], v[26:27]
	v_add_f64 v[106:107], v[106:107], v[112:113]
	;; [unrolled: 1-line block ×4, first 2 shown]
	v_mul_f64 v[32:33], v[72:73], s[30:31]
	v_fma_f64 v[112:113], v[82:83], s[16:17], -v[134:135]
	v_add_f64 v[138:139], v[2:3], v[138:139]
	v_fma_f64 v[142:143], v[102:103], s[16:17], v[140:141]
	v_fma_f64 v[34:35], v[82:83], s[16:17], v[134:135]
	v_fma_f64 v[154:155], v[82:83], s[26:27], -v[92:93]
	v_add_f64 v[152:153], v[2:3], v[152:153]
	v_fma_f64 v[160:161], v[102:103], s[26:27], v[94:95]
	v_add_f64 v[122:123], v[2:3], v[122:123]
	v_fma_f64 v[134:135], v[102:103], s[16:17], -v[140:141]
	v_fma_f64 v[82:83], v[82:83], s[26:27], v[92:93]
	v_add_f64 v[2:3], v[2:3], v[80:81]
	v_fma_f64 v[80:81], v[102:103], s[26:27], -v[94:95]
	v_add_f64 v[6:7], v[6:7], v[30:31]
	v_add_f64 v[4:5], v[4:5], v[28:29]
	v_mul_f64 v[20:21], v[78:79], s[30:31]
	v_fma_f64 v[92:93], v[74:75], s[6:7], -v[86:87]
	v_mul_f64 v[72:73], v[72:73], s[22:23]
	v_mul_f64 v[78:79], v[78:79], s[22:23]
	v_fma_f64 v[140:141], v[76:77], s[14:15], v[90:91]
	v_fma_f64 v[102:103], v[76:77], s[6:7], v[88:89]
	;; [unrolled: 1-line block ×3, first 2 shown]
	v_fma_f64 v[86:87], v[76:77], s[6:7], -v[88:89]
	v_fma_f64 v[76:77], v[76:77], s[14:15], -v[90:91]
	v_add_f64 v[94:95], v[112:113], v[138:139]
	v_fma_f64 v[112:113], v[74:75], s[14:15], -v[84:85]
	v_add_f64 v[26:27], v[142:143], v[26:27]
	v_fma_f64 v[74:75], v[74:75], s[14:15], v[84:85]
	v_add_f64 v[138:139], v[154:155], v[152:153]
	v_add_f64 v[24:25], v[160:161], v[24:25]
	;; [unrolled: 1-line block ×4, first 2 shown]
	v_mul_f64 v[28:29], v[64:65], s[24:25]
	v_add_f64 v[2:3], v[82:83], v[2:3]
	v_add_f64 v[0:1], v[80:81], v[0:1]
	;; [unrolled: 1-line block ×4, first 2 shown]
	v_mul_f64 v[80:81], v[70:71], s[24:25]
	v_fma_f64 v[82:83], v[66:67], s[10:11], -v[32:33]
	v_mul_f64 v[64:65], v[64:65], s[20:21]
	v_mul_f64 v[70:71], v[70:71], s[20:21]
	v_fma_f64 v[90:91], v[66:67], s[16:17], -v[72:73]
	v_fma_f64 v[88:89], v[68:69], s[10:11], v[20:21]
	v_fma_f64 v[32:33], v[66:67], s[10:11], v[32:33]
	v_fma_f64 v[20:21], v[68:69], s[10:11], -v[20:21]
	v_fma_f64 v[38:39], v[68:69], s[16:17], -v[78:79]
	v_add_f64 v[84:85], v[92:93], v[94:95]
	v_fma_f64 v[94:95], v[68:69], s[16:17], v[78:79]
	v_add_f64 v[26:27], v[102:103], v[26:27]
	v_mul_f64 v[36:37], v[58:59], s[18:19]
	v_add_f64 v[92:93], v[112:113], v[138:139]
	v_add_f64 v[24:25], v[140:141], v[24:25]
	;; [unrolled: 1-line block ×4, first 2 shown]
	v_fma_f64 v[34:35], v[66:67], s[16:17], v[72:73]
	v_add_f64 v[2:3], v[74:75], v[2:3]
	v_add_f64 v[0:1], v[76:77], v[0:1]
	v_add_f64 v[6:7], v[6:7], v[50:51]
	v_add_f64 v[4:5], v[4:5], v[48:49]
	v_mul_f64 v[66:67], v[62:63], s[18:19]
	v_fma_f64 v[68:69], v[54:55], s[14:15], -v[28:29]
	v_mul_f64 v[58:59], v[58:59], s[12:13]
	v_mul_f64 v[62:63], v[62:63], s[12:13]
	v_fma_f64 v[76:77], v[54:55], s[10:11], -v[64:65]
	v_fma_f64 v[74:75], v[60:61], s[14:15], v[80:81]
	v_add_f64 v[48:49], v[136:137], v[106:107]
	v_fma_f64 v[28:29], v[54:55], s[14:15], v[28:29]
	v_add_f64 v[50:51], v[146:147], v[10:11]
	v_add_f64 v[72:73], v[82:83], v[84:85]
	v_fma_f64 v[82:83], v[60:61], s[10:11], v[70:71]
	v_add_f64 v[26:27], v[88:89], v[26:27]
	v_add_f64 v[8:9], v[8:9], v[100:101]
	;; [unrolled: 1-line block ×5, first 2 shown]
	v_fma_f64 v[32:33], v[60:61], s[14:15], -v[80:81]
	v_add_f64 v[20:21], v[20:21], v[22:23]
	v_fma_f64 v[22:23], v[54:55], s[10:11], v[64:65]
	v_add_f64 v[2:3], v[34:35], v[2:3]
	v_fma_f64 v[34:35], v[60:61], s[10:11], -v[70:71]
	v_add_f64 v[0:1], v[38:39], v[0:1]
	v_fma_f64 v[38:39], v[52:53], s[10:11], -v[120:121]
	v_add_f64 v[46:47], v[6:7], v[46:47]
	v_add_f64 v[44:45], v[4:5], v[44:45]
	v_fma_f64 v[70:71], v[52:53], s[6:7], -v[58:59]
	v_fma_f64 v[60:61], v[52:53], s[4:5], -v[36:37]
	v_fma_f64 v[54:55], v[56:57], s[10:11], v[148:149]
	v_add_f64 v[48:49], v[130:131], v[48:49]
	v_fma_f64 v[100:101], v[56:57], s[26:27], v[126:127]
	v_add_f64 v[108:109], v[110:111], v[108:109]
	v_add_f64 v[64:65], v[68:69], v[72:73]
	v_fma_f64 v[68:69], v[56:57], s[4:5], v[66:67]
	v_add_f64 v[74:75], v[74:75], v[26:27]
	v_fma_f64 v[177:178], v[52:53], s[16:17], v[128:129]
	;; [unrolled: 2-line block ×3, first 2 shown]
	v_add_f64 v[24:25], v[82:83], v[24:25]
	v_fma_f64 v[128:129], v[52:53], s[16:17], -v[128:129]
	v_fma_f64 v[156:157], v[56:57], s[26:27], -v[126:127]
	v_fma_f64 v[110:111], v[52:53], s[10:11], v[120:121]
	v_fma_f64 v[126:127], v[56:57], s[10:11], -v[148:149]
	v_fma_f64 v[78:79], v[52:53], s[4:5], v[36:37]
	v_add_f64 v[80:81], v[28:29], v[30:31]
	v_fma_f64 v[66:67], v[56:57], s[4:5], -v[66:67]
	v_add_f64 v[82:83], v[32:33], v[20:21]
	v_fma_f64 v[52:53], v[52:53], s[6:7], v[58:59]
	v_add_f64 v[58:59], v[22:23], v[2:3]
	v_fma_f64 v[56:57], v[56:57], s[6:7], -v[62:63]
	v_add_f64 v[62:63], v[34:35], v[0:1]
	v_add_f64 v[26:27], v[38:39], v[50:51]
	;; [unrolled: 1-line block ×23, first 2 shown]
	v_mul_i32_i24_e32 v52, 0xd0, v166
	v_add3_u32 v52, 0, v52, v170
	ds_write_b128 v52, v[36:39]
	ds_write_b128 v52, v[32:35] offset:16
	ds_write_b128 v52, v[28:31] offset:32
	;; [unrolled: 1-line block ×12, first 2 shown]
.LBB0_15:
	s_or_b32 exec_lo, exec_lo, s1
	v_add_nc_u32_e32 v12, 26, v182
	v_lshlrev_b32_e32 v186, 2, v182
	v_mov_b32_e32 v187, 0
	v_add_nc_u32_e32 v172, 39, v182
	v_add_nc_u32_e32 v171, 52, v182
	v_and_b32_e32 v2, 0xff, v12
	s_waitcnt lgkmcnt(0)
	v_lshlrev_b64 v[0:1], 4, v[186:187]
	v_and_b32_e32 v3, 0xff, v172
	s_barrier
	v_mul_lo_u16 v2, 0x4f, v2
	buffer_gl0_inv
	v_lshlrev_b32_e32 v186, 2, v166
	v_add_co_u32 v164, s0, s8, v0
	v_add_co_ci_u32_e64 v165, s0, s9, v1, s0
	v_lshrrev_b16 v0, 10, v2
	v_mul_lo_u16 v1, 0x4f, v3
	v_and_b32_e32 v2, 0xff, v171
	s_clause 0x3
	global_load_dwordx4 v[24:27], v[164:165], off offset:16
	global_load_dwordx4 v[28:31], v[164:165], off
	global_load_dwordx4 v[20:23], v[164:165], off offset:48
	global_load_dwordx4 v[32:35], v[164:165], off offset:32
	v_mul_lo_u16 v0, v0, 13
	v_lshrrev_b16 v1, 10, v1
	v_mul_lo_u16 v2, 0x4f, v2
	v_mov_b32_e32 v3, 6
	v_lshlrev_b32_e32 v13, 4, v166
	v_sub_nc_u16 v173, v12, v0
	v_mul_lo_u16 v0, v1, 13
	v_lshrrev_b16 v1, 10, v2
	v_lshlrev_b64 v[166:167], 4, v[186:187]
	v_lshlrev_b32_e32 v186, 2, v12
	v_lshlrev_b32_sdwa v2, v3, v173 dst_sel:DWORD dst_unused:UNUSED_PAD src0_sel:DWORD src1_sel:BYTE_0
	v_sub_nc_u16 v174, v172, v0
	v_mul_lo_u16 v0, v1, 13
	s_clause 0x1
	global_load_dwordx4 v[64:67], v2, s[8:9]
	global_load_dwordx4 v[60:63], v2, s[8:9] offset:16
	v_lshlrev_b32_sdwa v1, v3, v174 dst_sel:DWORD dst_unused:UNUSED_PAD src0_sel:DWORD src1_sel:BYTE_0
	global_load_dwordx4 v[56:59], v2, s[8:9] offset:32
	v_sub_nc_u16 v175, v171, v0
	s_clause 0x2
	global_load_dwordx4 v[52:55], v2, s[8:9] offset:48
	global_load_dwordx4 v[40:43], v1, s[8:9]
	global_load_dwordx4 v[36:39], v1, s[8:9] offset:16
	v_mov_b32_e32 v176, 4
	v_lshlrev_b64 v[168:169], 4, v[186:187]
	v_lshlrev_b32_sdwa v0, v3, v175 dst_sel:DWORD dst_unused:UNUSED_PAD src0_sel:DWORD src1_sel:BYTE_0
	s_clause 0x5
	global_load_dwordx4 v[48:51], v1, s[8:9] offset:32
	global_load_dwordx4 v[44:47], v1, s[8:9] offset:48
	global_load_dwordx4 v[80:83], v0, s[8:9]
	global_load_dwordx4 v[76:79], v0, s[8:9] offset:16
	global_load_dwordx4 v[72:75], v0, s[8:9] offset:32
	;; [unrolled: 1-line block ×3, first 2 shown]
	ds_read_b128 v[152:155], v181 offset:1040
	ds_read_b128 v[144:147], v181 offset:1248
	;; [unrolled: 1-line block ×4, first 2 shown]
	ds_read_b128 v[16:19], v188
	ds_read_b128 v[8:11], v181 offset:416
	ds_read_b128 v[140:143], v181 offset:2288
	;; [unrolled: 1-line block ×19, first 2 shown]
	v_lshlrev_b32_e32 v186, 2, v172
	v_lshlrev_b32_sdwa v172, v176, v173 dst_sel:DWORD dst_unused:UNUSED_PAD src0_sel:DWORD src1_sel:BYTE_0
	v_lshlrev_b32_sdwa v174, v176, v174 dst_sel:DWORD dst_unused:UNUSED_PAD src0_sel:DWORD src1_sel:BYTE_0
	;; [unrolled: 1-line block ×3, first 2 shown]
	v_add3_u32 v183, 0, v13, v170
	s_mov_b32 s12, 0x134454ff
	v_add3_u32 v173, 0, v172, v170
	v_add3_u32 v172, 0, v174, v170
	;; [unrolled: 1-line block ×3, first 2 shown]
	ds_read_b128 v[12:15], v183
	s_mov_b32 s13, 0xbfee6f0e
	s_mov_b32 s15, 0x3fee6f0e
	;; [unrolled: 1-line block ×9, first 2 shown]
	s_waitcnt vmcnt(0) lgkmcnt(0)
	s_barrier
	buffer_gl0_inv
	v_add_co_u32 v166, s0, s8, v166
	v_add_co_ci_u32_e64 v167, s0, s9, v167, s0
	v_mul_f64 v[178:179], v[162:163], v[26:27]
	v_mul_f64 v[174:175], v[154:155], v[30:31]
	;; [unrolled: 1-line block ×35, first 2 shown]
	v_fma_f64 v[152:153], v[152:153], v[28:29], v[174:175]
	v_fma_f64 v[154:155], v[154:155], v[28:29], -v[176:177]
	v_mul_f64 v[78:79], v[108:109], v[78:79]
	v_mul_f64 v[174:175], v[114:115], v[74:75]
	v_fma_f64 v[160:161], v[160:161], v[24:25], v[178:179]
	v_fma_f64 v[162:163], v[162:163], v[24:25], -v[189:190]
	v_mul_f64 v[74:75], v[112:113], v[74:75]
	v_mul_f64 v[176:177], v[118:119], v[70:71]
	v_fma_f64 v[148:149], v[148:149], v[32:33], v[191:192]
	v_fma_f64 v[150:151], v[150:151], v[32:33], -v[193:194]
	v_mul_f64 v[70:71], v[116:117], v[70:71]
	v_fma_f64 v[62:63], v[156:157], v[20:21], v[195:196]
	v_fma_f64 v[50:51], v[158:159], v[20:21], -v[197:198]
	v_fma_f64 v[146:147], v[146:147], v[28:29], -v[30:31]
	v_fma_f64 v[144:145], v[144:145], v[28:29], v[199:200]
	v_fma_f64 v[140:141], v[140:141], v[24:25], v[201:202]
	v_fma_f64 v[142:143], v[142:143], v[24:25], -v[26:27]
	v_fma_f64 v[136:137], v[136:137], v[32:33], v[203:204]
	v_fma_f64 v[138:139], v[138:139], v[32:33], -v[34:35]
	;; [unrolled: 2-line block ×15, first 2 shown]
	v_add_f64 v[68:69], v[16:17], v[152:153]
	v_add_f64 v[108:109], v[152:153], -v[160:161]
	v_add_f64 v[110:111], v[62:63], -v[148:149]
	v_add_f64 v[112:113], v[152:153], v[62:63]
	v_add_f64 v[114:115], v[160:161], -v[152:153]
	v_add_f64 v[116:117], v[148:149], -v[62:63]
	;; [unrolled: 3-line block ×3, first 2 shown]
	v_add_f64 v[130:131], v[50:51], -v[150:151]
	v_add_f64 v[134:135], v[162:163], -v[154:155]
	;; [unrolled: 1-line block ×3, first 2 shown]
	v_add_f64 v[191:192], v[14:15], v[146:147]
	v_add_f64 v[70:71], v[160:161], v[148:149]
	v_add_f64 v[74:75], v[154:155], -v[50:51]
	v_add_f64 v[120:121], v[162:163], v[150:151]
	v_add_f64 v[132:133], v[154:155], v[50:51]
	;; [unrolled: 1-line block ×3, first 2 shown]
	v_add_f64 v[158:159], v[144:145], -v[140:141]
	v_add_f64 v[174:175], v[32:33], -v[136:137]
	v_add_f64 v[176:177], v[144:145], v[32:33]
	v_add_f64 v[178:179], v[140:141], -v[144:145]
	v_add_f64 v[58:59], v[144:145], -v[32:33]
	;; [unrolled: 1-line block ×4, first 2 shown]
	v_add_f64 v[156:157], v[140:141], v[136:137]
	v_add_f64 v[193:194], v[142:143], v[138:139]
	v_add_f64 v[189:190], v[136:137], -v[32:33]
	v_add_f64 v[197:198], v[146:147], v[28:29]
	v_add_f64 v[201:202], v[8:9], v[128:129]
	;; [unrolled: 1-line block ×13, first 2 shown]
	v_add_f64 v[106:107], v[162:163], -v[150:151]
	v_add_f64 v[56:57], v[146:147], -v[28:29]
	;; [unrolled: 1-line block ×6, first 2 shown]
	v_add_f64 v[249:250], v[0:1], v[104:105]
	v_add_f64 v[251:252], v[82:83], v[78:79]
	;; [unrolled: 1-line block ×5, first 2 shown]
	v_add_f64 v[116:117], v[82:83], -v[104:105]
	v_add_f64 v[118:119], v[118:119], v[162:163]
	v_add_f64 v[162:163], v[78:79], -v[24:25]
	v_add_f64 v[126:127], v[126:127], v[130:131]
	v_add_f64 v[130:131], v[2:3], v[80:81]
	;; [unrolled: 1-line block ×4, first 2 shown]
	v_add_f64 v[60:61], v[142:143], -v[138:139]
	v_add_f64 v[142:143], v[191:192], v[142:143]
	v_add_f64 v[191:192], v[80:81], v[20:21]
	v_add_f64 v[48:49], v[80:81], -v[20:21]
	v_fma_f64 v[70:71], v[70:71], -0.5, v[16:17]
	v_fma_f64 v[120:121], v[120:121], -0.5, v[18:19]
	v_add_f64 v[68:69], v[68:69], v[160:161]
	v_add_f64 v[158:159], v[158:159], v[174:175]
	v_add_f64 v[174:175], v[80:81], -v[76:77]
	v_add_f64 v[80:81], v[76:77], -v[80:81]
	v_add_f64 v[144:145], v[144:145], v[195:196]
	v_add_f64 v[195:196], v[72:73], -v[20:21]
	v_add_f64 v[124:125], v[160:161], -v[148:149]
	v_fma_f64 v[112:113], v[112:113], -0.5, v[16:17]
	v_fma_f64 v[18:19], v[132:133], -0.5, v[18:19]
	v_add_f64 v[132:133], v[104:105], -v[82:83]
	v_add_f64 v[160:161], v[24:25], -v[78:79]
	;; [unrolled: 1-line block ×3, first 2 shown]
	v_add_f64 v[140:141], v[154:155], v[140:141]
	v_fma_f64 v[156:157], v[156:157], -0.5, v[12:13]
	v_fma_f64 v[12:13], v[176:177], -0.5, v[12:13]
	;; [unrolled: 1-line block ×3, first 2 shown]
	v_add_f64 v[178:179], v[178:179], v[189:190]
	v_add_f64 v[189:190], v[20:21], -v[72:73]
	v_fma_f64 v[14:15], v[197:198], -0.5, v[14:15]
	v_add_f64 v[52:53], v[66:67], -v[30:31]
	v_add_f64 v[54:55], v[102:103], -v[98:99]
	;; [unrolled: 1-line block ×7, first 2 shown]
	v_add_f64 v[100:101], v[201:202], v[100:101]
	v_fma_f64 v[193:194], v[203:204], -0.5, v[8:9]
	v_add_f64 v[102:103], v[215:216], v[102:103]
	v_fma_f64 v[201:202], v[217:218], -0.5, v[10:11]
	v_fma_f64 v[8:9], v[209:210], -0.5, v[8:9]
	;; [unrolled: 1-line block ×3, first 2 shown]
	v_add_f64 v[38:39], v[90:91], -v[22:23]
	v_add_f64 v[40:41], v[94:95], -v[86:87]
	;; [unrolled: 1-line block ×8, first 2 shown]
	v_add_f64 v[92:93], v[225:226], v[92:93]
	v_fma_f64 v[203:204], v[227:228], -0.5, v[4:5]
	v_add_f64 v[94:95], v[239:240], v[94:95]
	v_fma_f64 v[209:210], v[241:242], -0.5, v[6:7]
	v_add_f64 v[219:220], v[30:31], -v[98:99]
	v_fma_f64 v[4:5], v[233:234], -0.5, v[4:5]
	v_fma_f64 v[6:7], v[245:246], -0.5, v[6:7]
	v_add_f64 v[16:17], v[76:77], -v[72:73]
	v_add_f64 v[104:105], v[104:105], -v[24:25]
	;; [unrolled: 1-line block ×3, first 2 shown]
	v_add_f64 v[146:147], v[146:147], v[199:200]
	v_add_f64 v[199:200], v[211:212], v[213:214]
	;; [unrolled: 1-line block ×3, first 2 shown]
	v_fma_f64 v[211:212], v[251:252], -0.5, v[0:1]
	v_fma_f64 v[0:1], v[110:111], -0.5, v[0:1]
	v_add_f64 v[110:111], v[116:117], v[162:163]
	v_add_f64 v[76:77], v[130:131], v[76:77]
	v_fma_f64 v[116:117], v[152:153], -0.5, v[2:3]
	v_add_f64 v[223:224], v[98:99], -v[30:31]
	v_fma_f64 v[2:3], v[191:192], -0.5, v[2:3]
	v_add_f64 v[207:208], v[34:35], -v[96:97]
	v_add_f64 v[231:232], v[26:27], -v[84:85]
	v_add_f64 v[152:153], v[80:81], v[195:196]
	v_add_f64 v[68:69], v[68:69], v[148:149]
	v_fma_f64 v[80:81], v[74:75], s[12:13], v[70:71]
	v_add_f64 v[118:119], v[118:119], v[150:151]
	v_fma_f64 v[150:151], v[122:123], s[14:15], v[120:121]
	;; [unrolled: 2-line block ×3, first 2 shown]
	v_fma_f64 v[148:149], v[106:107], s[14:15], v[112:113]
	v_fma_f64 v[160:161], v[124:125], s[12:13], v[18:19]
	;; [unrolled: 1-line block ×5, first 2 shown]
	v_add_f64 v[136:137], v[140:141], v[136:137]
	v_fma_f64 v[140:141], v[56:57], s[12:13], v[156:157]
	v_add_f64 v[138:139], v[142:143], v[138:139]
	v_fma_f64 v[142:143], v[58:59], s[14:15], v[176:177]
	;; [unrolled: 2-line block ×3, first 2 shown]
	v_fma_f64 v[174:175], v[58:59], s[12:13], v[176:177]
	v_fma_f64 v[176:177], v[64:65], s[12:13], v[14:15]
	;; [unrolled: 1-line block ×5, first 2 shown]
	v_add_f64 v[96:97], v[100:101], v[96:97]
	v_fma_f64 v[100:101], v[52:53], s[12:13], v[193:194]
	v_add_f64 v[98:99], v[102:103], v[98:99]
	v_fma_f64 v[102:103], v[36:37], s[14:15], v[201:202]
	v_fma_f64 v[189:190], v[52:53], s[14:15], v[193:194]
	;; [unrolled: 1-line block ×7, first 2 shown]
	v_add_f64 v[237:238], v[84:85], -v[26:27]
	v_add_f64 v[243:244], v[22:23], -v[86:87]
	;; [unrolled: 1-line block ×3, first 2 shown]
	v_add_f64 v[84:85], v[92:93], v[84:85]
	v_fma_f64 v[92:93], v[38:39], s[12:13], v[203:204]
	v_add_f64 v[86:87], v[94:95], v[86:87]
	v_fma_f64 v[94:95], v[42:43], s[14:15], v[209:210]
	;; [unrolled: 2-line block ×3, first 2 shown]
	v_fma_f64 v[219:220], v[46:47], s[12:13], v[6:7]
	v_fma_f64 v[217:218], v[40:41], s[12:13], v[4:5]
	;; [unrolled: 1-line block ×5, first 2 shown]
	v_add_f64 v[78:79], v[82:83], v[78:79]
	v_fma_f64 v[82:83], v[48:49], s[12:13], v[211:212]
	v_add_f64 v[72:73], v[76:77], v[72:73]
	v_fma_f64 v[76:77], v[104:105], s[14:15], v[116:117]
	;; [unrolled: 2-line block ×3, first 2 shown]
	v_fma_f64 v[116:117], v[104:105], s[12:13], v[116:117]
	v_fma_f64 v[227:228], v[154:155], s[12:13], v[2:3]
	v_add_f64 v[197:198], v[205:206], v[207:208]
	v_add_f64 v[205:206], v[229:230], v[231:232]
	v_fma_f64 v[225:226], v[16:17], s[12:13], v[0:1]
	v_fma_f64 v[229:230], v[154:155], s[14:15], v[2:3]
	;; [unrolled: 1-line block ×3, first 2 shown]
	v_add_f64 v[0:1], v[68:69], v[62:63]
	v_fma_f64 v[62:63], v[106:107], s[6:7], v[80:81]
	v_add_f64 v[2:3], v[118:119], v[50:51]
	v_fma_f64 v[50:51], v[124:125], s[10:11], v[150:151]
	v_fma_f64 v[68:69], v[106:107], s[10:11], v[70:71]
	v_fma_f64 v[70:71], v[74:75], s[6:7], v[148:149]
	v_fma_f64 v[106:107], v[122:123], s[10:11], v[160:161]
	v_fma_f64 v[74:75], v[74:75], s[10:11], v[112:113]
	v_fma_f64 v[112:113], v[122:123], s[6:7], v[18:19]
	v_fma_f64 v[80:81], v[124:125], s[6:7], v[120:121]
	v_fma_f64 v[118:119], v[60:61], s[6:7], v[140:141]
	v_fma_f64 v[122:123], v[64:65], s[10:11], v[142:143]
	v_fma_f64 v[120:121], v[56:57], s[6:7], v[162:163]
	v_fma_f64 v[124:125], v[58:59], s[10:11], v[176:177]
	v_fma_f64 v[56:57], v[56:57], s[10:11], v[12:13]
	v_fma_f64 v[58:59], v[58:59], s[6:7], v[14:15]
	v_fma_f64 v[60:61], v[60:61], s[10:11], v[156:157]
	v_fma_f64 v[64:65], v[64:65], s[6:7], v[174:175]
	v_add_f64 v[8:9], v[96:97], v[34:35]
	v_fma_f64 v[96:97], v[54:55], s[6:7], v[100:101]
	v_add_f64 v[10:11], v[98:99], v[30:31]
	v_fma_f64 v[98:99], v[44:45], s[10:11], v[102:103]
	v_add_f64 v[4:5], v[136:137], v[32:33]
	v_add_f64 v[6:7], v[138:139], v[28:29]
	v_fma_f64 v[54:55], v[54:55], s[10:11], v[189:190]
	v_fma_f64 v[100:101], v[52:53], s[6:7], v[191:192]
	;; [unrolled: 1-line block ×6, first 2 shown]
	v_add_f64 v[88:89], v[88:89], v[243:244]
	v_add_f64 v[12:13], v[84:85], v[26:27]
	v_fma_f64 v[84:85], v[40:41], s[6:7], v[92:93]
	v_add_f64 v[14:15], v[86:87], v[22:23]
	v_fma_f64 v[86:87], v[46:47], s[10:11], v[94:95]
	v_add_f64 v[207:208], v[235:236], v[237:238]
	v_add_f64 v[90:91], v[90:91], v[247:248]
	v_fma_f64 v[142:143], v[38:39], s[6:7], v[215:216]
	v_fma_f64 v[150:151], v[42:43], s[10:11], v[219:220]
	;; [unrolled: 1-line block ×6, first 2 shown]
	v_add_f64 v[18:19], v[78:79], v[24:25]
	v_fma_f64 v[78:79], v[16:17], s[6:7], v[82:83]
	v_fma_f64 v[174:175], v[154:155], s[10:11], v[76:77]
	;; [unrolled: 1-line block ×8, first 2 shown]
	v_add_f64 v[20:21], v[72:73], v[20:21]
	v_fma_f64 v[22:23], v[108:109], s[4:5], v[62:63]
	v_fma_f64 v[24:25], v[126:127], s[4:5], v[50:51]
	;; [unrolled: 1-line block ×16, first 2 shown]
	ds_write_b128 v181, v[0:3]
	ds_write_b128 v181, v[4:7] offset:1040
	v_fma_f64 v[0:1], v[197:198], s[4:5], v[96:97]
	v_fma_f64 v[2:3], v[128:129], s[4:5], v[98:99]
	;; [unrolled: 1-line block ×24, first 2 shown]
	ds_write_b128 v173, v[8:11] offset:2080
	ds_write_b128 v172, v[12:15] offset:3120
	;; [unrolled: 1-line block ×23, first 2 shown]
	s_waitcnt lgkmcnt(0)
	s_barrier
	buffer_gl0_inv
	s_clause 0x3
	global_load_dwordx4 v[40:43], v[164:165], off offset:848
	global_load_dwordx4 v[44:47], v[164:165], off offset:832
	;; [unrolled: 1-line block ×4, first 2 shown]
	v_add_co_u32 v0, s0, s8, v168
	v_lshlrev_b64 v[2:3], 4, v[186:187]
	v_lshlrev_b32_e32 v186, 2, v171
	v_add_co_ci_u32_e64 v1, s0, s9, v169, s0
	s_clause 0x5
	global_load_dwordx4 v[24:27], v[166:167], off offset:848
	global_load_dwordx4 v[36:39], v[166:167], off offset:832
	;; [unrolled: 1-line block ×6, first 2 shown]
	v_add_co_u32 v2, s0, s8, v2
	v_lshlrev_b64 v[4:5], 4, v[186:187]
	v_add_co_ci_u32_e64 v3, s0, s9, v3, s0
	s_clause 0x4
	global_load_dwordx4 v[60:63], v[0:1], off offset:864
	global_load_dwordx4 v[64:67], v[0:1], off offset:880
	;; [unrolled: 1-line block ×5, first 2 shown]
	v_add_co_u32 v0, s0, s8, v4
	v_add_co_ci_u32_e64 v1, s0, s9, v5, s0
	s_clause 0x4
	global_load_dwordx4 v[72:75], v[2:3], off offset:880
	global_load_dwordx4 v[96:99], v[0:1], off offset:832
	;; [unrolled: 1-line block ×5, first 2 shown]
	ds_read_b128 v[172:175], v181 offset:2080
	ds_read_b128 v[156:159], v181 offset:4160
	ds_read_b128 v[12:15], v183
	ds_read_b128 v[176:179], v181 offset:1040
	ds_read_b128 v[160:163], v181 offset:1248
	ds_read_b128 v[168:171], v181 offset:3120
	ds_read_b128 v[152:155], v181 offset:3328
	ds_read_b128 v[16:19], v188
	ds_read_b128 v[8:11], v181 offset:416
	ds_read_b128 v[164:167], v181 offset:2288
	;; [unrolled: 1-line block ×17, first 2 shown]
	s_waitcnt vmcnt(0) lgkmcnt(0)
	s_barrier
	buffer_gl0_inv
	v_mul_f64 v[191:192], v[174:175], v[42:43]
	v_mul_f64 v[189:190], v[178:179], v[46:47]
	;; [unrolled: 1-line block ×32, first 2 shown]
	v_fma_f64 v[176:177], v[176:177], v[44:45], v[189:190]
	v_fma_f64 v[44:45], v[178:179], v[44:45], -v[46:47]
	v_mul_f64 v[46:47], v[110:111], v[98:99]
	v_mul_f64 v[98:99], v[108:109], v[98:99]
	;; [unrolled: 1-line block ×4, first 2 shown]
	v_fma_f64 v[172:173], v[172:173], v[40:41], v[191:192]
	v_fma_f64 v[40:41], v[174:175], v[40:41], -v[42:43]
	v_mul_f64 v[42:43], v[102:103], v[90:91]
	v_mul_f64 v[90:91], v[100:101], v[90:91]
	;; [unrolled: 1-line block ×4, first 2 shown]
	v_fma_f64 v[168:169], v[168:169], v[32:33], v[193:194]
	v_fma_f64 v[32:33], v[170:171], v[32:33], -v[34:35]
	v_fma_f64 v[34:35], v[156:157], v[28:29], v[195:196]
	v_fma_f64 v[30:31], v[158:159], v[28:29], -v[30:31]
	;; [unrolled: 2-line block ×18, first 2 shown]
	v_add_f64 v[84:85], v[16:17], v[176:177]
	v_add_f64 v[86:87], v[172:173], v[168:169]
	;; [unrolled: 1-line block ×5, first 2 shown]
	v_add_f64 v[110:111], v[44:45], -v[40:41]
	v_add_f64 v[112:113], v[30:31], -v[32:33]
	;; [unrolled: 1-line block ×5, first 2 shown]
	v_add_f64 v[102:103], v[18:19], v[44:45]
	v_add_f64 v[44:45], v[40:41], -v[44:45]
	v_add_f64 v[116:117], v[32:33], -v[30:31]
	v_add_f64 v[118:119], v[12:13], v[156:157]
	v_add_f64 v[120:121], v[38:39], v[152:153]
	v_add_f64 v[126:127], v[156:157], -v[38:39]
	v_add_f64 v[128:129], v[82:83], -v[152:153]
	v_add_f64 v[130:131], v[156:157], v[82:83]
	v_add_f64 v[136:137], v[14:15], v[36:37]
	;; [unrolled: 1-line block ×4, first 2 shown]
	v_add_f64 v[122:123], v[36:37], -v[148:149]
	v_add_f64 v[132:133], v[38:39], -v[156:157]
	;; [unrolled: 1-line block ×8, first 2 shown]
	v_add_f64 v[160:161], v[8:9], v[144:145]
	v_add_f64 v[162:163], v[78:79], v[50:51]
	;; [unrolled: 1-line block ×4, first 2 shown]
	v_add_f64 v[92:93], v[176:177], -v[172:173]
	v_add_f64 v[106:107], v[176:177], -v[34:35]
	v_add_f64 v[176:177], v[144:145], v[62:63]
	v_add_f64 v[201:202], v[76:77], v[24:25]
	;; [unrolled: 1-line block ×8, first 2 shown]
	v_add_f64 v[94:95], v[34:35], -v[168:169]
	v_add_f64 v[108:109], v[172:173], -v[168:169]
	v_add_f64 v[170:171], v[144:145], -v[78:79]
	v_add_f64 v[174:175], v[62:63], -v[50:51]
	v_add_f64 v[209:210], v[66:67], -v[22:23]
	v_add_f64 v[229:230], v[66:67], -v[52:53]
	v_add_f64 v[66:67], v[52:53], -v[66:67]
	v_add_f64 v[235:236], v[56:57], -v[22:23]
	v_add_f64 v[237:238], v[0:1], v[46:47]
	v_add_f64 v[239:240], v[70:71], v[42:43]
	v_fma_f64 v[86:87], v[86:87], -0.5, v[16:17]
	v_fma_f64 v[16:17], v[96:97], -0.5, v[16:17]
	v_fma_f64 v[96:97], v[104:105], -0.5, v[18:19]
	v_fma_f64 v[18:19], v[114:115], -0.5, v[18:19]
	v_add_f64 v[114:115], v[2:3], v[58:59]
	v_add_f64 v[84:85], v[84:85], v[172:173]
	;; [unrolled: 1-line block ×6, first 2 shown]
	v_add_f64 v[90:91], v[40:41], -v[32:33]
	v_add_f64 v[241:242], v[58:59], -v[20:21]
	v_add_f64 v[98:99], v[98:99], v[100:101]
	v_add_f64 v[100:101], v[58:59], -v[72:73]
	v_add_f64 v[40:41], v[102:103], v[40:41]
	v_add_f64 v[102:103], v[20:21], -v[74:75]
	v_add_f64 v[58:59], v[72:73], -v[58:59]
	v_add_f64 v[44:45], v[44:45], v[116:117]
	v_add_f64 v[116:117], v[74:75], -v[20:21]
	v_add_f64 v[142:143], v[38:39], -v[152:153]
	v_add_f64 v[38:39], v[118:119], v[38:39]
	v_fma_f64 v[118:119], v[120:121], -0.5, v[12:13]
	v_add_f64 v[120:121], v[126:127], v[128:129]
	v_fma_f64 v[12:13], v[130:131], -0.5, v[12:13]
	;; [unrolled: 2-line block ×3, first 2 shown]
	v_add_f64 v[124:125], v[158:159], -v[80:81]
	v_fma_f64 v[14:15], v[154:155], -0.5, v[14:15]
	v_add_f64 v[164:165], v[76:77], -v[24:25]
	v_add_f64 v[166:167], v[48:49], -v[60:61]
	;; [unrolled: 1-line block ×7, first 2 shown]
	v_add_f64 v[126:127], v[132:133], v[134:135]
	v_add_f64 v[132:133], v[146:147], v[150:151]
	;; [unrolled: 1-line block ×4, first 2 shown]
	v_fma_f64 v[78:79], v[162:163], -0.5, v[8:9]
	v_add_f64 v[48:49], v[191:192], v[48:49]
	v_fma_f64 v[146:147], v[193:194], -0.5, v[10:11]
	v_add_f64 v[189:190], v[50:51], -v[62:63]
	v_fma_f64 v[8:9], v[176:177], -0.5, v[8:9]
	v_fma_f64 v[10:11], v[201:202], -0.5, v[10:11]
	v_add_f64 v[211:212], v[52:53], -v[56:57]
	v_add_f64 v[213:214], v[64:65], -v[68:69]
	;; [unrolled: 1-line block ×5, first 2 shown]
	v_add_f64 v[68:69], v[205:206], v[68:69]
	v_fma_f64 v[154:155], v[207:208], -0.5, v[4:5]
	v_add_f64 v[52:53], v[223:224], v[52:53]
	v_fma_f64 v[160:161], v[225:226], -0.5, v[6:7]
	v_add_f64 v[199:200], v[24:25], -v[60:61]
	v_fma_f64 v[4:5], v[217:218], -0.5, v[4:5]
	v_fma_f64 v[6:7], v[233:234], -0.5, v[6:7]
	v_add_f64 v[243:244], v[72:73], -v[74:75]
	v_add_f64 v[245:246], v[46:47], -v[70:71]
	v_add_f64 v[251:252], v[70:71], -v[46:47]
	v_add_f64 v[46:47], v[46:47], -v[26:27]
	v_add_f64 v[92:93], v[92:93], v[94:95]
	v_add_f64 v[94:95], v[70:71], -v[42:43]
	v_add_f64 v[136:137], v[170:171], v[174:175]
	v_add_f64 v[170:171], v[66:67], v[235:236]
	;; [unrolled: 1-line block ×3, first 2 shown]
	v_fma_f64 v[70:71], v[239:240], -0.5, v[0:1]
	v_add_f64 v[72:73], v[114:115], v[72:73]
	v_fma_f64 v[114:115], v[172:173], -0.5, v[2:3]
	v_add_f64 v[203:204], v[60:61], -v[24:25]
	v_add_f64 v[215:216], v[28:29], -v[54:55]
	v_fma_f64 v[0:1], v[249:250], -0.5, v[0:1]
	v_fma_f64 v[2:3], v[112:113], -0.5, v[2:3]
	v_add_f64 v[100:101], v[100:101], v[102:103]
	v_add_f64 v[102:103], v[58:59], v[116:117]
	;; [unrolled: 1-line block ×3, first 2 shown]
	v_fma_f64 v[84:85], v[88:89], s[12:13], v[86:87]
	v_add_f64 v[32:33], v[40:41], v[32:33]
	v_fma_f64 v[40:41], v[106:107], s[14:15], v[96:97]
	v_fma_f64 v[86:87], v[88:89], s[14:15], v[86:87]
	;; [unrolled: 1-line block ×7, first 2 shown]
	v_add_f64 v[38:39], v[38:39], v[152:153]
	v_fma_f64 v[152:153], v[122:123], s[12:13], v[118:119]
	v_add_f64 v[80:81], v[128:129], v[80:81]
	v_fma_f64 v[128:129], v[140:141], s[14:15], v[130:131]
	v_fma_f64 v[168:169], v[124:125], s[14:15], v[12:13]
	;; [unrolled: 1-line block ×7, first 2 shown]
	v_add_f64 v[36:37], v[36:37], v[50:51]
	v_fma_f64 v[50:51], v[164:165], s[12:13], v[78:79]
	v_add_f64 v[48:49], v[48:49], v[60:61]
	v_fma_f64 v[60:61], v[144:145], s[14:15], v[146:147]
	;; [unrolled: 2-line block ×3, first 2 shown]
	v_fma_f64 v[189:190], v[195:196], s[12:13], v[10:11]
	v_fma_f64 v[178:179], v[166:167], s[12:13], v[8:9]
	;; [unrolled: 1-line block ×5, first 2 shown]
	v_add_f64 v[221:222], v[54:55], -v[28:29]
	v_add_f64 v[231:232], v[22:23], -v[56:57]
	v_add_f64 v[54:55], v[68:69], v[54:55]
	v_fma_f64 v[68:69], v[209:210], s[12:13], v[154:155]
	v_add_f64 v[52:53], v[52:53], v[56:57]
	v_fma_f64 v[56:57], v[64:65], s[14:15], v[160:161]
	;; [unrolled: 2-line block ×3, first 2 shown]
	v_fma_f64 v[193:194], v[211:212], s[14:15], v[4:5]
	v_fma_f64 v[199:200], v[227:228], s[12:13], v[6:7]
	;; [unrolled: 1-line block ×5, first 2 shown]
	v_add_f64 v[247:248], v[26:27], -v[42:43]
	v_add_f64 v[104:105], v[42:43], -v[26:27]
	v_add_f64 v[42:43], v[66:67], v[42:43]
	v_fma_f64 v[66:67], v[241:242], s[12:13], v[70:71]
	v_add_f64 v[72:73], v[72:73], v[74:75]
	v_fma_f64 v[74:75], v[46:47], s[14:15], v[114:115]
	v_add_f64 v[76:77], v[76:77], v[203:204]
	v_add_f64 v[156:157], v[213:214], v[215:216]
	v_fma_f64 v[70:71], v[241:242], s[14:15], v[70:71]
	v_fma_f64 v[203:204], v[243:244], s[14:15], v[0:1]
	;; [unrolled: 1-line block ×6, first 2 shown]
	v_add_f64 v[0:1], v[58:59], v[34:35]
	v_fma_f64 v[34:35], v[90:91], s[6:7], v[84:85]
	v_add_f64 v[2:3], v[32:33], v[30:31]
	v_fma_f64 v[30:31], v[108:109], s[10:11], v[40:41]
	v_fma_f64 v[58:59], v[90:91], s[10:11], v[86:87]
	;; [unrolled: 1-line block ×7, first 2 shown]
	v_add_f64 v[4:5], v[38:39], v[82:83]
	v_fma_f64 v[38:39], v[124:125], s[6:7], v[152:153]
	v_add_f64 v[6:7], v[80:81], v[148:149]
	v_fma_f64 v[80:81], v[142:143], s[10:11], v[128:129]
	v_fma_f64 v[96:97], v[122:123], s[6:7], v[168:169]
	;; [unrolled: 1-line block ×7, first 2 shown]
	v_add_f64 v[8:9], v[36:37], v[62:63]
	v_fma_f64 v[62:63], v[166:167], s[6:7], v[50:51]
	v_fma_f64 v[124:125], v[195:196], s[10:11], v[60:61]
	;; [unrolled: 1-line block ×8, first 2 shown]
	v_add_f64 v[162:163], v[229:230], v[231:232]
	v_fma_f64 v[68:69], v[211:212], s[6:7], v[68:69]
	v_fma_f64 v[148:149], v[227:228], s[10:11], v[56:57]
	v_add_f64 v[158:159], v[219:220], v[221:222]
	v_fma_f64 v[142:143], v[211:212], s[10:11], v[154:155]
	v_fma_f64 v[144:145], v[209:210], s[6:7], v[193:194]
	;; [unrolled: 1-line block ×6, first 2 shown]
	v_add_f64 v[174:175], v[245:246], v[247:248]
	v_fma_f64 v[164:165], v[243:244], s[6:7], v[66:67]
	v_fma_f64 v[176:177], v[94:95], s[10:11], v[74:75]
	v_add_f64 v[104:105], v[251:252], v[104:105]
	v_fma_f64 v[166:167], v[243:244], s[10:11], v[70:71]
	v_fma_f64 v[168:169], v[241:242], s[6:7], v[203:204]
	;; [unrolled: 1-line block ×6, first 2 shown]
	v_add_f64 v[14:15], v[52:53], v[22:23]
	v_add_f64 v[18:19], v[72:73], v[20:21]
	v_fma_f64 v[20:21], v[92:93], s[4:5], v[34:35]
	v_fma_f64 v[22:23], v[110:111], s[4:5], v[30:31]
	v_add_f64 v[12:13], v[54:55], v[28:29]
	v_fma_f64 v[28:29], v[98:99], s[4:5], v[84:85]
	v_fma_f64 v[30:31], v[44:45], s[4:5], v[88:89]
	;; [unrolled: 1-line block ×4, first 2 shown]
	v_add_f64 v[10:11], v[48:49], v[24:25]
	v_add_f64 v[16:17], v[42:43], v[26:27]
	v_fma_f64 v[24:25], v[92:93], s[4:5], v[58:59]
	v_fma_f64 v[26:27], v[110:111], s[4:5], v[40:41]
	;; [unrolled: 1-line block ×34, first 2 shown]
	ds_write_b128 v181, v[0:3]
	ds_write_b128 v181, v[20:23] offset:1040
	ds_write_b128 v181, v[28:31] offset:2080
	;; [unrolled: 1-line block ×4, first 2 shown]
	ds_write_b128 v183, v[4:7]
	ds_write_b128 v183, v[36:39] offset:1040
	ds_write_b128 v183, v[44:47] offset:2080
	;; [unrolled: 1-line block ×19, first 2 shown]
	s_waitcnt lgkmcnt(0)
	s_barrier
	buffer_gl0_inv
	s_and_saveexec_b32 s0, vcc_lo
	s_cbranch_execz .LBB0_17
; %bb.16:
	v_mov_b32_e32 v183, v187
	ds_read_b128 v[0:3], v188
	ds_read_b128 v[4:7], v188 offset:208
	ds_read_b128 v[8:11], v188 offset:416
	ds_read_b128 v[12:15], v188 offset:624
	v_add_co_u32 v54, vcc_lo, s2, v184
	v_add_co_ci_u32_e32 v55, vcc_lo, s3, v185, vcc_lo
	v_lshlrev_b64 v[28:29], 4, v[182:183]
	ds_read_b128 v[16:19], v188 offset:832
	ds_read_b128 v[20:23], v188 offset:1040
	;; [unrolled: 1-line block ×3, first 2 shown]
	v_mov_b32_e32 v181, v187
	v_add_co_u32 v48, vcc_lo, v54, v28
	v_add_co_ci_u32_e32 v49, vcc_lo, v55, v29, vcc_lo
	ds_read_b128 v[28:31], v188 offset:1456
	ds_read_b128 v[32:35], v188 offset:1664
	ds_read_b128 v[36:39], v188 offset:1872
	v_add_co_u32 v50, vcc_lo, 0x800, v48
	s_waitcnt lgkmcnt(9)
	global_store_dwordx4 v[48:49], v[0:3], off
	ds_read_b128 v[0:3], v188 offset:2080
	ds_read_b128 v[40:43], v188 offset:2288
	;; [unrolled: 1-line block ×3, first 2 shown]
	s_waitcnt lgkmcnt(11)
	global_store_dwordx4 v[48:49], v[4:7], off offset:208
	s_waitcnt lgkmcnt(10)
	global_store_dwordx4 v[48:49], v[8:11], off offset:416
	;; [unrolled: 2-line block ×6, first 2 shown]
	ds_read_b128 v[4:7], v188 offset:2704
	ds_read_b128 v[8:11], v188 offset:2912
	;; [unrolled: 1-line block ×3, first 2 shown]
	v_add_co_ci_u32_e32 v51, vcc_lo, 0, v49, vcc_lo
	v_lshlrev_b64 v[52:53], 4, v[180:181]
	s_waitcnt lgkmcnt(8)
	global_store_dwordx4 v[48:49], v[28:31], off offset:1456
	s_waitcnt lgkmcnt(7)
	global_store_dwordx4 v[48:49], v[32:35], off offset:1664
	;; [unrolled: 2-line block ×6, first 2 shown]
	ds_read_b128 v[0:3], v188 offset:3328
	ds_read_b128 v[16:19], v188 offset:3536
	;; [unrolled: 1-line block ×9, first 2 shown]
	s_waitcnt lgkmcnt(11)
	global_store_dwordx4 v[50:51], v[4:7], off offset:656
	s_waitcnt lgkmcnt(10)
	global_store_dwordx4 v[50:51], v[8:11], off offset:864
	;; [unrolled: 2-line block ×3, first 2 shown]
	v_add_co_u32 v4, vcc_lo, v54, v52
	v_add_co_ci_u32_e32 v5, vcc_lo, v55, v53, vcc_lo
	v_add_co_u32 v6, vcc_lo, 0x1000, v48
	v_add_co_ci_u32_e32 v7, vcc_lo, 0, v49, vcc_lo
	s_waitcnt lgkmcnt(8)
	global_store_dwordx4 v[4:5], v[0:3], off
	s_waitcnt lgkmcnt(7)
	global_store_dwordx4 v[50:51], v[16:19], off offset:1488
	s_waitcnt lgkmcnt(6)
	global_store_dwordx4 v[50:51], v[20:23], off offset:1696
	;; [unrolled: 2-line block ×8, first 2 shown]
.LBB0_17:
	s_endpgm
	.section	.rodata,"a",@progbits
	.p2align	6, 0x0
	.amdhsa_kernel fft_rtc_back_len325_factors_13_5_5_wgs_52_tpt_13_dp_ip_CI_unitstride_sbrr_dirReg
		.amdhsa_group_segment_fixed_size 0
		.amdhsa_private_segment_fixed_size 0
		.amdhsa_kernarg_size 88
		.amdhsa_user_sgpr_count 6
		.amdhsa_user_sgpr_private_segment_buffer 1
		.amdhsa_user_sgpr_dispatch_ptr 0
		.amdhsa_user_sgpr_queue_ptr 0
		.amdhsa_user_sgpr_kernarg_segment_ptr 1
		.amdhsa_user_sgpr_dispatch_id 0
		.amdhsa_user_sgpr_flat_scratch_init 0
		.amdhsa_user_sgpr_private_segment_size 0
		.amdhsa_wavefront_size32 1
		.amdhsa_uses_dynamic_stack 0
		.amdhsa_system_sgpr_private_segment_wavefront_offset 0
		.amdhsa_system_sgpr_workgroup_id_x 1
		.amdhsa_system_sgpr_workgroup_id_y 0
		.amdhsa_system_sgpr_workgroup_id_z 0
		.amdhsa_system_sgpr_workgroup_info 0
		.amdhsa_system_vgpr_workitem_id 0
		.amdhsa_next_free_vgpr 253
		.amdhsa_next_free_sgpr 44
		.amdhsa_reserve_vcc 1
		.amdhsa_reserve_flat_scratch 0
		.amdhsa_float_round_mode_32 0
		.amdhsa_float_round_mode_16_64 0
		.amdhsa_float_denorm_mode_32 3
		.amdhsa_float_denorm_mode_16_64 3
		.amdhsa_dx10_clamp 1
		.amdhsa_ieee_mode 1
		.amdhsa_fp16_overflow 0
		.amdhsa_workgroup_processor_mode 1
		.amdhsa_memory_ordered 1
		.amdhsa_forward_progress 0
		.amdhsa_shared_vgpr_count 0
		.amdhsa_exception_fp_ieee_invalid_op 0
		.amdhsa_exception_fp_denorm_src 0
		.amdhsa_exception_fp_ieee_div_zero 0
		.amdhsa_exception_fp_ieee_overflow 0
		.amdhsa_exception_fp_ieee_underflow 0
		.amdhsa_exception_fp_ieee_inexact 0
		.amdhsa_exception_int_div_zero 0
	.end_amdhsa_kernel
	.text
.Lfunc_end0:
	.size	fft_rtc_back_len325_factors_13_5_5_wgs_52_tpt_13_dp_ip_CI_unitstride_sbrr_dirReg, .Lfunc_end0-fft_rtc_back_len325_factors_13_5_5_wgs_52_tpt_13_dp_ip_CI_unitstride_sbrr_dirReg
                                        ; -- End function
	.section	.AMDGPU.csdata,"",@progbits
; Kernel info:
; codeLenInByte = 17180
; NumSgprs: 46
; NumVgprs: 253
; ScratchSize: 0
; MemoryBound: 0
; FloatMode: 240
; IeeeMode: 1
; LDSByteSize: 0 bytes/workgroup (compile time only)
; SGPRBlocks: 5
; VGPRBlocks: 31
; NumSGPRsForWavesPerEU: 46
; NumVGPRsForWavesPerEU: 253
; Occupancy: 4
; WaveLimiterHint : 1
; COMPUTE_PGM_RSRC2:SCRATCH_EN: 0
; COMPUTE_PGM_RSRC2:USER_SGPR: 6
; COMPUTE_PGM_RSRC2:TRAP_HANDLER: 0
; COMPUTE_PGM_RSRC2:TGID_X_EN: 1
; COMPUTE_PGM_RSRC2:TGID_Y_EN: 0
; COMPUTE_PGM_RSRC2:TGID_Z_EN: 0
; COMPUTE_PGM_RSRC2:TIDIG_COMP_CNT: 0
	.text
	.p2alignl 6, 3214868480
	.fill 48, 4, 3214868480
	.type	__hip_cuid_7d8837e95874b760,@object ; @__hip_cuid_7d8837e95874b760
	.section	.bss,"aw",@nobits
	.globl	__hip_cuid_7d8837e95874b760
__hip_cuid_7d8837e95874b760:
	.byte	0                               ; 0x0
	.size	__hip_cuid_7d8837e95874b760, 1

	.ident	"AMD clang version 19.0.0git (https://github.com/RadeonOpenCompute/llvm-project roc-6.4.0 25133 c7fe45cf4b819c5991fe208aaa96edf142730f1d)"
	.section	".note.GNU-stack","",@progbits
	.addrsig
	.addrsig_sym __hip_cuid_7d8837e95874b760
	.amdgpu_metadata
---
amdhsa.kernels:
  - .args:
      - .actual_access:  read_only
        .address_space:  global
        .offset:         0
        .size:           8
        .value_kind:     global_buffer
      - .offset:         8
        .size:           8
        .value_kind:     by_value
      - .actual_access:  read_only
        .address_space:  global
        .offset:         16
        .size:           8
        .value_kind:     global_buffer
      - .actual_access:  read_only
        .address_space:  global
        .offset:         24
        .size:           8
        .value_kind:     global_buffer
      - .offset:         32
        .size:           8
        .value_kind:     by_value
      - .actual_access:  read_only
        .address_space:  global
        .offset:         40
        .size:           8
        .value_kind:     global_buffer
      - .actual_access:  read_only
        .address_space:  global
        .offset:         48
        .size:           8
        .value_kind:     global_buffer
      - .offset:         56
        .size:           4
        .value_kind:     by_value
      - .actual_access:  read_only
        .address_space:  global
        .offset:         64
        .size:           8
        .value_kind:     global_buffer
      - .actual_access:  read_only
        .address_space:  global
        .offset:         72
        .size:           8
        .value_kind:     global_buffer
      - .address_space:  global
        .offset:         80
        .size:           8
        .value_kind:     global_buffer
    .group_segment_fixed_size: 0
    .kernarg_segment_align: 8
    .kernarg_segment_size: 88
    .language:       OpenCL C
    .language_version:
      - 2
      - 0
    .max_flat_workgroup_size: 52
    .name:           fft_rtc_back_len325_factors_13_5_5_wgs_52_tpt_13_dp_ip_CI_unitstride_sbrr_dirReg
    .private_segment_fixed_size: 0
    .sgpr_count:     46
    .sgpr_spill_count: 0
    .symbol:         fft_rtc_back_len325_factors_13_5_5_wgs_52_tpt_13_dp_ip_CI_unitstride_sbrr_dirReg.kd
    .uniform_work_group_size: 1
    .uses_dynamic_stack: false
    .vgpr_count:     253
    .vgpr_spill_count: 0
    .wavefront_size: 32
    .workgroup_processor_mode: 1
amdhsa.target:   amdgcn-amd-amdhsa--gfx1030
amdhsa.version:
  - 1
  - 2
...

	.end_amdgpu_metadata
